;; amdgpu-corpus repo=ROCm/rocFFT kind=compiled arch=gfx1201 opt=O3
	.text
	.amdgcn_target "amdgcn-amd-amdhsa--gfx1201"
	.amdhsa_code_object_version 6
	.protected	fft_rtc_back_len1785_factors_17_3_5_7_wgs_119_tpt_119_halfLds_dp_ip_CI_unitstride_sbrr_dirReg ; -- Begin function fft_rtc_back_len1785_factors_17_3_5_7_wgs_119_tpt_119_halfLds_dp_ip_CI_unitstride_sbrr_dirReg
	.globl	fft_rtc_back_len1785_factors_17_3_5_7_wgs_119_tpt_119_halfLds_dp_ip_CI_unitstride_sbrr_dirReg
	.p2align	8
	.type	fft_rtc_back_len1785_factors_17_3_5_7_wgs_119_tpt_119_halfLds_dp_ip_CI_unitstride_sbrr_dirReg,@function
fft_rtc_back_len1785_factors_17_3_5_7_wgs_119_tpt_119_halfLds_dp_ip_CI_unitstride_sbrr_dirReg: ; @fft_rtc_back_len1785_factors_17_3_5_7_wgs_119_tpt_119_halfLds_dp_ip_CI_unitstride_sbrr_dirReg
; %bb.0:
	s_clause 0x2
	s_load_b128 s[4:7], s[0:1], 0x0
	s_load_b64 s[8:9], s[0:1], 0x50
	s_load_b64 s[10:11], s[0:1], 0x18
	v_mul_u32_u24_e32 v1, 0x227, v0
	v_mov_b32_e32 v3, 0
	s_delay_alu instid0(VALU_DEP_2) | instskip(NEXT) | instid1(VALU_DEP_1)
	v_lshrrev_b32_e32 v1, 16, v1
	v_add_nc_u32_e32 v5, ttmp9, v1
	v_mov_b32_e32 v1, 0
	v_mov_b32_e32 v2, 0
	;; [unrolled: 1-line block ×3, first 2 shown]
	s_wait_kmcnt 0x0
	v_cmp_lt_u64_e64 s2, s[6:7], 2
	s_delay_alu instid0(VALU_DEP_1)
	s_and_b32 vcc_lo, exec_lo, s2
	s_cbranch_vccnz .LBB0_8
; %bb.1:
	s_load_b64 s[2:3], s[0:1], 0x10
	v_mov_b32_e32 v1, 0
	v_mov_b32_e32 v2, 0
	s_add_nc_u64 s[12:13], s[10:11], 8
	s_mov_b64 s[14:15], 1
	s_wait_kmcnt 0x0
	s_add_nc_u64 s[16:17], s[2:3], 8
	s_mov_b32 s3, 0
.LBB0_2:                                ; =>This Inner Loop Header: Depth=1
	s_load_b64 s[18:19], s[16:17], 0x0
                                        ; implicit-def: $vgpr7_vgpr8
	s_mov_b32 s2, exec_lo
	s_wait_kmcnt 0x0
	v_or_b32_e32 v4, s19, v6
	s_delay_alu instid0(VALU_DEP_1)
	v_cmpx_ne_u64_e32 0, v[3:4]
	s_wait_alu 0xfffe
	s_xor_b32 s20, exec_lo, s2
	s_cbranch_execz .LBB0_4
; %bb.3:                                ;   in Loop: Header=BB0_2 Depth=1
	s_cvt_f32_u32 s2, s18
	s_cvt_f32_u32 s21, s19
	s_sub_nc_u64 s[24:25], 0, s[18:19]
	s_wait_alu 0xfffe
	s_delay_alu instid0(SALU_CYCLE_1) | instskip(SKIP_1) | instid1(SALU_CYCLE_2)
	s_fmamk_f32 s2, s21, 0x4f800000, s2
	s_wait_alu 0xfffe
	v_s_rcp_f32 s2, s2
	s_delay_alu instid0(TRANS32_DEP_1) | instskip(SKIP_1) | instid1(SALU_CYCLE_2)
	s_mul_f32 s2, s2, 0x5f7ffffc
	s_wait_alu 0xfffe
	s_mul_f32 s21, s2, 0x2f800000
	s_wait_alu 0xfffe
	s_delay_alu instid0(SALU_CYCLE_2) | instskip(SKIP_1) | instid1(SALU_CYCLE_2)
	s_trunc_f32 s21, s21
	s_wait_alu 0xfffe
	s_fmamk_f32 s2, s21, 0xcf800000, s2
	s_cvt_u32_f32 s23, s21
	s_wait_alu 0xfffe
	s_delay_alu instid0(SALU_CYCLE_1) | instskip(SKIP_1) | instid1(SALU_CYCLE_2)
	s_cvt_u32_f32 s22, s2
	s_wait_alu 0xfffe
	s_mul_u64 s[26:27], s[24:25], s[22:23]
	s_wait_alu 0xfffe
	s_mul_hi_u32 s29, s22, s27
	s_mul_i32 s28, s22, s27
	s_mul_hi_u32 s2, s22, s26
	s_mul_i32 s30, s23, s26
	s_wait_alu 0xfffe
	s_add_nc_u64 s[28:29], s[2:3], s[28:29]
	s_mul_hi_u32 s21, s23, s26
	s_mul_hi_u32 s31, s23, s27
	s_add_co_u32 s2, s28, s30
	s_wait_alu 0xfffe
	s_add_co_ci_u32 s2, s29, s21
	s_mul_i32 s26, s23, s27
	s_add_co_ci_u32 s27, s31, 0
	s_wait_alu 0xfffe
	s_add_nc_u64 s[26:27], s[2:3], s[26:27]
	s_wait_alu 0xfffe
	v_add_co_u32 v4, s2, s22, s26
	s_delay_alu instid0(VALU_DEP_1) | instskip(SKIP_1) | instid1(VALU_DEP_1)
	s_cmp_lg_u32 s2, 0
	s_add_co_ci_u32 s23, s23, s27
	v_readfirstlane_b32 s22, v4
	s_wait_alu 0xfffe
	s_delay_alu instid0(VALU_DEP_1)
	s_mul_u64 s[24:25], s[24:25], s[22:23]
	s_wait_alu 0xfffe
	s_mul_hi_u32 s27, s22, s25
	s_mul_i32 s26, s22, s25
	s_mul_hi_u32 s2, s22, s24
	s_mul_i32 s28, s23, s24
	s_wait_alu 0xfffe
	s_add_nc_u64 s[26:27], s[2:3], s[26:27]
	s_mul_hi_u32 s21, s23, s24
	s_mul_hi_u32 s22, s23, s25
	s_wait_alu 0xfffe
	s_add_co_u32 s2, s26, s28
	s_add_co_ci_u32 s2, s27, s21
	s_mul_i32 s24, s23, s25
	s_add_co_ci_u32 s25, s22, 0
	s_wait_alu 0xfffe
	s_add_nc_u64 s[24:25], s[2:3], s[24:25]
	s_wait_alu 0xfffe
	v_add_co_u32 v4, s2, v4, s24
	s_delay_alu instid0(VALU_DEP_1) | instskip(SKIP_1) | instid1(VALU_DEP_1)
	s_cmp_lg_u32 s2, 0
	s_add_co_ci_u32 s2, s23, s25
	v_mul_hi_u32 v13, v5, v4
	s_wait_alu 0xfffe
	v_mad_co_u64_u32 v[7:8], null, v5, s2, 0
	v_mad_co_u64_u32 v[9:10], null, v6, v4, 0
	;; [unrolled: 1-line block ×3, first 2 shown]
	s_delay_alu instid0(VALU_DEP_3) | instskip(SKIP_1) | instid1(VALU_DEP_4)
	v_add_co_u32 v4, vcc_lo, v13, v7
	s_wait_alu 0xfffd
	v_add_co_ci_u32_e32 v7, vcc_lo, 0, v8, vcc_lo
	s_delay_alu instid0(VALU_DEP_2) | instskip(SKIP_1) | instid1(VALU_DEP_2)
	v_add_co_u32 v4, vcc_lo, v4, v9
	s_wait_alu 0xfffd
	v_add_co_ci_u32_e32 v4, vcc_lo, v7, v10, vcc_lo
	s_wait_alu 0xfffd
	v_add_co_ci_u32_e32 v7, vcc_lo, 0, v12, vcc_lo
	s_delay_alu instid0(VALU_DEP_2) | instskip(SKIP_1) | instid1(VALU_DEP_2)
	v_add_co_u32 v4, vcc_lo, v4, v11
	s_wait_alu 0xfffd
	v_add_co_ci_u32_e32 v9, vcc_lo, 0, v7, vcc_lo
	s_delay_alu instid0(VALU_DEP_2) | instskip(SKIP_1) | instid1(VALU_DEP_3)
	v_mul_lo_u32 v10, s19, v4
	v_mad_co_u64_u32 v[7:8], null, s18, v4, 0
	v_mul_lo_u32 v11, s18, v9
	s_delay_alu instid0(VALU_DEP_2) | instskip(NEXT) | instid1(VALU_DEP_2)
	v_sub_co_u32 v7, vcc_lo, v5, v7
	v_add3_u32 v8, v8, v11, v10
	s_delay_alu instid0(VALU_DEP_1) | instskip(SKIP_1) | instid1(VALU_DEP_1)
	v_sub_nc_u32_e32 v10, v6, v8
	s_wait_alu 0xfffd
	v_subrev_co_ci_u32_e64 v10, s2, s19, v10, vcc_lo
	v_add_co_u32 v11, s2, v4, 2
	s_wait_alu 0xf1ff
	v_add_co_ci_u32_e64 v12, s2, 0, v9, s2
	v_sub_co_u32 v13, s2, v7, s18
	v_sub_co_ci_u32_e32 v8, vcc_lo, v6, v8, vcc_lo
	s_wait_alu 0xf1ff
	v_subrev_co_ci_u32_e64 v10, s2, 0, v10, s2
	s_delay_alu instid0(VALU_DEP_3) | instskip(NEXT) | instid1(VALU_DEP_3)
	v_cmp_le_u32_e32 vcc_lo, s18, v13
	v_cmp_eq_u32_e64 s2, s19, v8
	s_wait_alu 0xfffd
	v_cndmask_b32_e64 v13, 0, -1, vcc_lo
	v_cmp_le_u32_e32 vcc_lo, s19, v10
	s_wait_alu 0xfffd
	v_cndmask_b32_e64 v14, 0, -1, vcc_lo
	v_cmp_le_u32_e32 vcc_lo, s18, v7
	;; [unrolled: 3-line block ×3, first 2 shown]
	s_wait_alu 0xfffd
	v_cndmask_b32_e64 v15, 0, -1, vcc_lo
	v_cmp_eq_u32_e32 vcc_lo, s19, v10
	s_wait_alu 0xf1ff
	s_delay_alu instid0(VALU_DEP_2)
	v_cndmask_b32_e64 v7, v15, v7, s2
	s_wait_alu 0xfffd
	v_cndmask_b32_e32 v10, v14, v13, vcc_lo
	v_add_co_u32 v13, vcc_lo, v4, 1
	s_wait_alu 0xfffd
	v_add_co_ci_u32_e32 v14, vcc_lo, 0, v9, vcc_lo
	s_delay_alu instid0(VALU_DEP_3) | instskip(SKIP_2) | instid1(VALU_DEP_3)
	v_cmp_ne_u32_e32 vcc_lo, 0, v10
	s_wait_alu 0xfffd
	v_cndmask_b32_e32 v10, v13, v11, vcc_lo
	v_cndmask_b32_e32 v8, v14, v12, vcc_lo
	v_cmp_ne_u32_e32 vcc_lo, 0, v7
	s_wait_alu 0xfffd
	s_delay_alu instid0(VALU_DEP_2)
	v_dual_cndmask_b32 v7, v4, v10 :: v_dual_cndmask_b32 v8, v9, v8
.LBB0_4:                                ;   in Loop: Header=BB0_2 Depth=1
	s_wait_alu 0xfffe
	s_and_not1_saveexec_b32 s2, s20
	s_cbranch_execz .LBB0_6
; %bb.5:                                ;   in Loop: Header=BB0_2 Depth=1
	v_cvt_f32_u32_e32 v4, s18
	s_sub_co_i32 s20, 0, s18
	s_delay_alu instid0(VALU_DEP_1) | instskip(NEXT) | instid1(TRANS32_DEP_1)
	v_rcp_iflag_f32_e32 v4, v4
	v_mul_f32_e32 v4, 0x4f7ffffe, v4
	s_delay_alu instid0(VALU_DEP_1) | instskip(SKIP_1) | instid1(VALU_DEP_1)
	v_cvt_u32_f32_e32 v4, v4
	s_wait_alu 0xfffe
	v_mul_lo_u32 v7, s20, v4
	s_delay_alu instid0(VALU_DEP_1) | instskip(NEXT) | instid1(VALU_DEP_1)
	v_mul_hi_u32 v7, v4, v7
	v_add_nc_u32_e32 v4, v4, v7
	s_delay_alu instid0(VALU_DEP_1) | instskip(NEXT) | instid1(VALU_DEP_1)
	v_mul_hi_u32 v4, v5, v4
	v_mul_lo_u32 v7, v4, s18
	v_add_nc_u32_e32 v8, 1, v4
	s_delay_alu instid0(VALU_DEP_2) | instskip(NEXT) | instid1(VALU_DEP_1)
	v_sub_nc_u32_e32 v7, v5, v7
	v_subrev_nc_u32_e32 v9, s18, v7
	v_cmp_le_u32_e32 vcc_lo, s18, v7
	s_wait_alu 0xfffd
	s_delay_alu instid0(VALU_DEP_2) | instskip(NEXT) | instid1(VALU_DEP_1)
	v_dual_cndmask_b32 v7, v7, v9 :: v_dual_cndmask_b32 v4, v4, v8
	v_cmp_le_u32_e32 vcc_lo, s18, v7
	s_delay_alu instid0(VALU_DEP_2) | instskip(SKIP_1) | instid1(VALU_DEP_1)
	v_add_nc_u32_e32 v8, 1, v4
	s_wait_alu 0xfffd
	v_dual_cndmask_b32 v7, v4, v8 :: v_dual_mov_b32 v8, v3
.LBB0_6:                                ;   in Loop: Header=BB0_2 Depth=1
	s_wait_alu 0xfffe
	s_or_b32 exec_lo, exec_lo, s2
	s_load_b64 s[20:21], s[12:13], 0x0
	s_delay_alu instid0(VALU_DEP_1)
	v_mul_lo_u32 v4, v8, s18
	v_mul_lo_u32 v11, v7, s19
	v_mad_co_u64_u32 v[9:10], null, v7, s18, 0
	s_add_nc_u64 s[14:15], s[14:15], 1
	s_add_nc_u64 s[12:13], s[12:13], 8
	s_wait_alu 0xfffe
	v_cmp_ge_u64_e64 s2, s[14:15], s[6:7]
	s_add_nc_u64 s[16:17], s[16:17], 8
	s_delay_alu instid0(VALU_DEP_2) | instskip(NEXT) | instid1(VALU_DEP_3)
	v_add3_u32 v4, v10, v11, v4
	v_sub_co_u32 v5, vcc_lo, v5, v9
	s_wait_alu 0xfffd
	s_delay_alu instid0(VALU_DEP_2) | instskip(SKIP_3) | instid1(VALU_DEP_2)
	v_sub_co_ci_u32_e32 v4, vcc_lo, v6, v4, vcc_lo
	s_and_b32 vcc_lo, exec_lo, s2
	s_wait_kmcnt 0x0
	v_mul_lo_u32 v6, s21, v5
	v_mul_lo_u32 v4, s20, v4
	v_mad_co_u64_u32 v[1:2], null, s20, v5, v[1:2]
	s_delay_alu instid0(VALU_DEP_1)
	v_add3_u32 v2, v6, v2, v4
	s_wait_alu 0xfffe
	s_cbranch_vccnz .LBB0_9
; %bb.7:                                ;   in Loop: Header=BB0_2 Depth=1
	v_dual_mov_b32 v5, v7 :: v_dual_mov_b32 v6, v8
	s_branch .LBB0_2
.LBB0_8:
	v_dual_mov_b32 v8, v6 :: v_dual_mov_b32 v7, v5
.LBB0_9:
	s_lshl_b64 s[2:3], s[6:7], 3
	v_mul_hi_u32 v3, 0x226b903, v0
	s_wait_alu 0xfffe
	s_add_nc_u64 s[2:3], s[10:11], s[2:3]
                                        ; implicit-def: $vgpr14_vgpr15
                                        ; implicit-def: $vgpr18_vgpr19
                                        ; implicit-def: $vgpr22_vgpr23
                                        ; implicit-def: $vgpr26_vgpr27
                                        ; implicit-def: $vgpr30_vgpr31
                                        ; implicit-def: $vgpr38_vgpr39
                                        ; implicit-def: $vgpr42_vgpr43
                                        ; implicit-def: $vgpr46_vgpr47
                                        ; implicit-def: $vgpr50_vgpr51
                                        ; implicit-def: $vgpr74_vgpr75
                                        ; implicit-def: $vgpr70_vgpr71
                                        ; implicit-def: $vgpr66_vgpr67
                                        ; implicit-def: $vgpr62_vgpr63
                                        ; implicit-def: $vgpr58_vgpr59
                                        ; implicit-def: $vgpr54_vgpr55
                                        ; implicit-def: $vgpr34_vgpr35
	s_load_b64 s[2:3], s[2:3], 0x0
	s_load_b64 s[0:1], s[0:1], 0x20
	s_delay_alu instid0(VALU_DEP_1) | instskip(NEXT) | instid1(VALU_DEP_1)
	v_mul_u32_u24_e32 v3, 0x77, v3
	v_sub_nc_u32_e32 v104, v0, v3
	s_wait_kmcnt 0x0
	v_mul_lo_u32 v4, s2, v8
	v_mul_lo_u32 v5, s3, v7
	v_mad_co_u64_u32 v[1:2], null, s2, v7, v[1:2]
	v_cmp_gt_u64_e32 vcc_lo, s[0:1], v[7:8]
	v_cmp_gt_u32_e64 s0, 0x69, v104
                                        ; implicit-def: $vgpr8_vgpr9
	s_delay_alu instid0(VALU_DEP_1) | instskip(NEXT) | instid1(VALU_DEP_3)
	s_and_b32 s1, vcc_lo, s0
	v_add3_u32 v2, v5, v2, v4
	s_delay_alu instid0(VALU_DEP_1)
	v_lshlrev_b64_e32 v[106:107], 4, v[1:2]
	s_wait_alu 0xfffe
	s_and_saveexec_b32 s2, s1
; %bb.10:
	v_mov_b32_e32 v105, 0
	s_delay_alu instid0(VALU_DEP_2) | instskip(SKIP_2) | instid1(VALU_DEP_3)
	v_add_co_u32 v2, s1, s8, v106
	s_wait_alu 0xf1ff
	v_add_co_ci_u32_e64 v3, s1, s9, v107, s1
	v_lshlrev_b64_e32 v[0:1], 4, v[104:105]
	s_delay_alu instid0(VALU_DEP_1) | instskip(SKIP_1) | instid1(VALU_DEP_2)
	v_add_co_u32 v0, s1, v2, v0
	s_wait_alu 0xf1ff
	v_add_co_ci_u32_e64 v1, s1, v3, v1, s1
	s_clause 0x10
	global_load_b128 v[32:35], v[0:1], off
	global_load_b128 v[52:55], v[0:1], off offset:1680
	global_load_b128 v[56:59], v[0:1], off offset:3360
	;; [unrolled: 1-line block ×16, first 2 shown]
; %bb.11:
	s_wait_alu 0xfffe
	s_or_b32 exec_lo, exec_lo, s2
	s_wait_loadcnt 0x0
	v_add_f64_e64 v[86:87], v[54:55], -v[8:9]
	s_mov_b32 s24, 0x5d8e7cdc
	s_mov_b32 s28, 0x2a9d6da3
	s_mov_b32 s25, 0xbfd71e95
	s_mov_b32 s29, 0xbfe58eea
	v_add_f64_e32 v[100:101], v[6:7], v[52:53]
	v_add_f64_e64 v[90:91], v[58:59], -v[14:15]
	s_mov_b32 s2, 0x370991
	s_mov_b32 s22, 0xeb564b22
	s_mov_b32 s18, 0x75d4884
	s_mov_b32 s3, 0x3fedd6d0
	s_mov_b32 s23, 0xbfefdd0d
	s_mov_b32 s19, 0x3fe7a5f6
	v_add_f64_e32 v[130:131], v[12:13], v[56:57]
	v_add_f64_e64 v[84:85], v[62:63], -v[18:19]
	s_mov_b32 s20, 0x3259b75e
	s_mov_b32 s34, 0x7c9e640b
	;; [unrolled: 8-line block ×4, first 2 shown]
	s_mov_b32 s38, 0x4363dd80
	s_mov_b32 s7, 0xbfef7484
	;; [unrolled: 1-line block ×4, first 2 shown]
	v_add_f64_e32 v[134:135], v[24:25], v[68:69]
	s_wait_alu 0xfffe
	v_mul_f64_e32 v[112:113], s[24:25], v[86:87]
	v_mul_f64_e32 v[114:115], s[28:29], v[86:87]
	v_add_f64_e64 v[80:81], v[74:75], -v[30:31]
	s_mov_b32 s14, 0xc61f0d01
	s_mov_b32 s12, 0x910ea3b9
	;; [unrolled: 1-line block ×3, first 2 shown]
	v_mul_f64_e32 v[122:123], s[28:29], v[90:91]
	v_mul_f64_e32 v[128:129], s[22:23], v[90:91]
	s_mov_b32 s13, 0xbfeb34fa
	s_mov_b32 s41, 0x3feec746
	;; [unrolled: 1-line block ×3, first 2 shown]
	v_add_f64_e32 v[132:133], v[28:29], v[72:73]
	s_mov_b32 s43, 0xbfe0d888
	s_mov_b32 s45, 0x3feca52d
	v_mul_f64_e32 v[120:121], s[34:35], v[84:85]
	v_mul_f64_e32 v[126:127], s[26:27], v[84:85]
	s_mov_b32 s42, s38
	s_mov_b32 s44, s34
	v_add_f64_e32 v[124:125], v[36:37], v[48:49]
	s_mov_b32 s47, 0x3fd71e95
	s_mov_b32 s46, s24
	v_add_f64_e32 v[102:103], v[40:41], v[44:45]
	v_mul_f64_e32 v[110:111], s[22:23], v[88:89]
	v_mul_f64_e32 v[118:119], s[30:31], v[88:89]
	;; [unrolled: 1-line block ×4, first 2 shown]
	v_fma_f64 v[0:1], v[100:101], s[2:3], -v[112:113]
	v_fma_f64 v[2:3], v[100:101], s[18:19], -v[114:115]
	v_mul_f64_e32 v[96:97], s[26:27], v[80:81]
	v_mul_f64_e32 v[98:99], s[40:41], v[80:81]
	v_fma_f64 v[4:5], v[130:131], s[18:19], -v[122:123]
	v_fma_f64 v[10:11], v[130:131], s[20:21], -v[128:129]
	;; [unrolled: 1-line block ×5, first 2 shown]
	v_add_f64_e32 v[0:1], v[32:33], v[0:1]
	v_add_f64_e32 v[2:3], v[32:33], v[2:3]
	v_fma_f64 v[140:141], v[132:133], s[16:17], -v[96:97]
	s_wait_alu 0xfffe
	v_fma_f64 v[142:143], v[132:133], s[14:15], -v[98:99]
	s_delay_alu instid0(VALU_DEP_4) | instskip(NEXT) | instid1(VALU_DEP_4)
	v_add_f64_e32 v[0:1], v[4:5], v[0:1]
	v_add_f64_e32 v[2:3], v[10:11], v[2:3]
	v_fma_f64 v[4:5], v[138:139], s[20:21], -v[110:111]
	v_add_f64_e64 v[10:11], v[50:51], -v[38:39]
	s_delay_alu instid0(VALU_DEP_4) | instskip(NEXT) | instid1(VALU_DEP_4)
	v_add_f64_e32 v[0:1], v[76:77], v[0:1]
	v_add_f64_e32 v[2:3], v[78:79], v[2:3]
	v_fma_f64 v[76:77], v[134:135], s[14:15], -v[108:109]
	v_fma_f64 v[78:79], v[134:135], s[12:13], -v[116:117]
	v_mul_f64_e32 v[94:95], s[44:45], v[10:11]
	v_add_f64_e32 v[4:5], v[4:5], v[0:1]
	v_add_f64_e32 v[2:3], v[92:93], v[2:3]
	v_add_f64_e64 v[0:1], v[46:47], -v[42:43]
	v_mul_f64_e32 v[92:93], s[42:43], v[10:11]
	v_fma_f64 v[146:147], v[124:125], s[10:11], -v[94:95]
	v_add_f64_e32 v[4:5], v[76:77], v[4:5]
	v_add_f64_e32 v[2:3], v[78:79], v[2:3]
	v_mul_f64_e32 v[76:77], s[30:31], v[0:1]
	v_mul_f64_e32 v[78:79], s[46:47], v[0:1]
	v_fma_f64 v[144:145], v[124:125], s[12:13], -v[92:93]
	v_add_f64_e32 v[4:5], v[140:141], v[4:5]
	v_add_f64_e32 v[2:3], v[142:143], v[2:3]
	v_fma_f64 v[140:141], v[102:103], s[6:7], -v[76:77]
	v_fma_f64 v[142:143], v[102:103], s[2:3], -v[78:79]
	s_delay_alu instid0(VALU_DEP_4) | instskip(NEXT) | instid1(VALU_DEP_4)
	v_add_f64_e32 v[4:5], v[144:145], v[4:5]
	v_add_f64_e32 v[2:3], v[146:147], v[2:3]
	s_delay_alu instid0(VALU_DEP_2) | instskip(NEXT) | instid1(VALU_DEP_2)
	v_add_f64_e32 v[4:5], v[140:141], v[4:5]
	v_add_f64_e32 v[2:3], v[142:143], v[2:3]
	s_and_saveexec_b32 s1, s0
	s_cbranch_execz .LBB0_13
; %bb.12:
	v_add_f64_e32 v[140:141], v[52:53], v[32:33]
	v_mul_f64_e32 v[142:143], s[6:7], v[100:101]
	v_mul_f64_e32 v[144:145], s[12:13], v[100:101]
	;; [unrolled: 1-line block ×8, first 2 shown]
	s_mov_b32 s49, 0x3fe9895b
	s_mov_b32 s48, s26
	;; [unrolled: 1-line block ×4, first 2 shown]
	v_mul_f64_e32 v[156:157], s[2:3], v[130:131]
	v_mul_f64_e32 v[158:159], s[10:11], v[130:131]
	v_mul_f64_e32 v[160:161], s[14:15], v[130:131]
	v_mul_f64_e32 v[162:163], s[12:13], v[130:131]
	v_mul_f64_e32 v[164:165], s[6:7], v[130:131]
	v_mul_f64_e32 v[166:167], s[16:17], v[130:131]
	v_mul_f64_e32 v[168:169], s[20:21], v[130:131]
	v_mul_f64_e32 v[130:131], s[18:19], v[130:131]
	s_mov_b32 s51, 0x3fefdd0d
	s_mov_b32 s50, s22
	v_mul_f64_e32 v[182:183], s[18:19], v[136:137]
	v_mul_f64_e32 v[184:185], s[14:15], v[136:137]
	;; [unrolled: 1-line block ×4, first 2 shown]
	s_mov_b32 s53, 0x3fe58eea
	s_mov_b32 s52, s28
	v_mul_f64_e32 v[202:203], s[2:3], v[138:139]
	v_mul_f64_e32 v[204:205], s[14:15], v[138:139]
	;; [unrolled: 1-line block ×3, first 2 shown]
	v_add_f64_e32 v[140:141], v[56:57], v[140:141]
	v_fma_f64 v[170:171], v[86:87], s[54:55], v[142:143]
	v_fma_f64 v[142:143], v[86:87], s[30:31], v[142:143]
	;; [unrolled: 1-line block ×12, first 2 shown]
	v_add_f64_e32 v[112:113], v[112:113], v[154:155]
	v_add_f64_e32 v[100:101], v[114:115], v[100:101]
	v_mul_f64_e32 v[152:153], s[20:21], v[136:137]
	v_mul_f64_e32 v[154:155], s[2:3], v[136:137]
	v_fma_f64 v[190:191], v[90:91], s[24:25], v[156:157]
	v_fma_f64 v[156:157], v[90:91], s[46:47], v[156:157]
	;; [unrolled: 1-line block ×12, first 2 shown]
	v_add_f64_e32 v[128:129], v[128:129], v[168:169]
	v_add_f64_e32 v[122:123], v[122:123], v[130:131]
	v_fma_f64 v[214:215], v[84:85], s[28:29], v[182:183]
	v_fma_f64 v[182:183], v[84:85], s[52:53], v[182:183]
	;; [unrolled: 1-line block ×5, first 2 shown]
	v_add_f64_e32 v[126:127], v[126:127], v[188:189]
	v_add_f64_e32 v[118:119], v[118:119], v[206:207]
	v_add_f64_e32 v[140:141], v[60:61], v[140:141]
	v_add_f64_e32 v[130:131], v[32:33], v[170:171]
	v_add_f64_e32 v[142:143], v[32:33], v[142:143]
	v_add_f64_e32 v[166:167], v[32:33], v[172:173]
	v_add_f64_e32 v[144:145], v[32:33], v[144:145]
	v_add_f64_e32 v[168:169], v[32:33], v[174:175]
	v_add_f64_e32 v[146:147], v[32:33], v[146:147]
	v_add_f64_e32 v[170:171], v[32:33], v[176:177]
	v_add_f64_e32 v[172:173], v[32:33], v[178:179]
	v_add_f64_e32 v[148:149], v[32:33], v[148:149]
	v_add_f64_e32 v[150:151], v[32:33], v[150:151]
	v_add_f64_e32 v[174:175], v[32:33], v[180:181]
	v_add_f64_e32 v[86:87], v[32:33], v[86:87]
	v_add_f64_e32 v[112:113], v[32:33], v[112:113]
	v_add_f64_e32 v[32:33], v[32:33], v[100:101]
	v_mul_f64_e32 v[176:177], s[16:17], v[138:139]
	v_mul_f64_e32 v[178:179], s[12:13], v[138:139]
	;; [unrolled: 1-line block ×3, first 2 shown]
	v_fma_f64 v[210:211], v[84:85], s[50:51], v[152:153]
	v_fma_f64 v[152:153], v[84:85], s[22:23], v[152:153]
	;; [unrolled: 1-line block ×4, first 2 shown]
	v_add_f64_e32 v[140:141], v[64:65], v[140:141]
	v_add_f64_e32 v[130:131], v[190:191], v[130:131]
	v_fma_f64 v[190:191], v[88:89], s[24:25], v[202:203]
	v_add_f64_e32 v[144:145], v[158:159], v[144:145]
	v_add_f64_e32 v[146:147], v[160:161], v[146:147]
	;; [unrolled: 1-line block ×10, first 2 shown]
	v_mul_f64_e32 v[112:113], s[16:17], v[134:135]
	v_mul_f64_e32 v[122:123], s[2:3], v[134:135]
	;; [unrolled: 1-line block ×5, first 2 shown]
	v_fma_f64 v[174:175], v[88:89], s[26:27], v[176:177]
	v_fma_f64 v[176:177], v[88:89], s[48:49], v[176:177]
	;; [unrolled: 1-line block ×4, first 2 shown]
	v_add_f64_e32 v[140:141], v[68:69], v[140:141]
	v_add_f64_e32 v[148:149], v[214:215], v[148:149]
	;; [unrolled: 1-line block ×4, first 2 shown]
	v_mul_f64_e32 v[126:127], s[18:19], v[132:133]
	v_fma_f64 v[196:197], v[82:83], s[22:23], v[128:129]
	v_fma_f64 v[128:129], v[82:83], s[50:51], v[128:129]
	;; [unrolled: 1-line block ×4, first 2 shown]
	v_add_f64_e32 v[116:117], v[116:117], v[170:171]
	v_mul_f64_e32 v[170:171], s[10:11], v[124:125]
	v_add_f64_e32 v[140:141], v[72:73], v[140:141]
	v_add_f64_e32 v[32:33], v[118:119], v[32:33]
	v_mul_f64_e32 v[118:119], s[6:7], v[124:125]
	s_delay_alu instid0(VALU_DEP_4) | instskip(NEXT) | instid1(VALU_DEP_4)
	v_add_f64_e32 v[94:95], v[94:95], v[170:171]
	v_add_f64_e32 v[140:141], v[48:49], v[140:141]
	s_delay_alu instid0(VALU_DEP_4) | instskip(SKIP_1) | instid1(VALU_DEP_3)
	v_add_f64_e32 v[32:33], v[116:117], v[32:33]
	v_mul_f64_e32 v[116:117], s[10:11], v[102:103]
	v_add_f64_e32 v[114:115], v[44:45], v[140:141]
	v_mul_f64_e32 v[140:141], s[12:13], v[136:137]
	v_mul_f64_e32 v[136:137], s[10:11], v[136:137]
	s_delay_alu instid0(VALU_DEP_3)
	v_add_f64_e32 v[100:101], v[40:41], v[114:115]
	v_mul_f64_e32 v[114:115], s[18:19], v[138:139]
	v_mul_f64_e32 v[138:139], s[20:21], v[138:139]
	v_fma_f64 v[208:209], v[84:85], s[38:39], v[140:141]
	v_fma_f64 v[140:141], v[84:85], s[42:43], v[140:141]
	v_add_f64_e32 v[120:121], v[120:121], v[136:137]
	v_add_f64_e32 v[136:137], v[156:157], v[142:143]
	;; [unrolled: 1-line block ×4, first 2 shown]
	v_fma_f64 v[84:85], v[84:85], s[54:55], v[186:187]
	v_mul_f64_e32 v[166:167], s[10:11], v[134:135]
	v_mul_f64_e32 v[168:169], s[18:19], v[134:135]
	;; [unrolled: 1-line block ×3, first 2 shown]
	v_fma_f64 v[186:187], v[88:89], s[38:39], v[178:179]
	v_fma_f64 v[178:179], v[88:89], s[42:43], v[178:179]
	;; [unrolled: 1-line block ×4, first 2 shown]
	v_add_f64_e32 v[100:101], v[36:37], v[100:101]
	v_fma_f64 v[172:173], v[88:89], s[28:29], v[114:115]
	v_fma_f64 v[114:115], v[88:89], s[52:53], v[114:115]
	v_add_f64_e32 v[110:111], v[110:111], v[138:139]
	v_add_f64_e32 v[130:131], v[208:209], v[130:131]
	v_fma_f64 v[88:89], v[88:89], s[40:41], v[204:205]
	v_add_f64_e32 v[136:137], v[140:141], v[136:137]
	v_add_f64_e32 v[138:139], v[210:211], v[142:143]
	;; [unrolled: 1-line block ×10, first 2 shown]
	v_mul_f64_e32 v[120:121], s[6:7], v[132:133]
	v_mul_f64_e32 v[156:157], s[20:21], v[132:133]
	v_mul_f64_e32 v[158:159], s[12:13], v[132:133]
	v_mul_f64_e32 v[160:161], s[2:3], v[132:133]
	v_mul_f64_e32 v[162:163], s[14:15], v[132:133]
	v_fma_f64 v[182:183], v[82:83], s[48:49], v[112:113]
	v_fma_f64 v[112:113], v[82:83], s[26:27], v[112:113]
	;; [unrolled: 1-line block ×6, first 2 shown]
	v_add_f64_e32 v[108:109], v[108:109], v[134:135]
	v_fma_f64 v[202:203], v[82:83], s[28:29], v[168:169]
	v_fma_f64 v[82:83], v[82:83], s[52:53], v[168:169]
	v_mul_f64_e32 v[168:169], s[20:21], v[124:125]
	v_add_f64_e32 v[90:91], v[28:29], v[100:101]
	v_mul_f64_e32 v[100:101], s[10:11], v[132:133]
	v_mul_f64_e32 v[132:133], s[16:17], v[132:133]
	v_add_f64_e32 v[130:131], v[172:173], v[130:131]
	v_add_f64_e32 v[114:115], v[114:115], v[136:137]
	;; [unrolled: 1-line block ×13, first 2 shown]
	v_mul_f64_e32 v[110:111], s[18:19], v[124:125]
	v_mul_f64_e32 v[152:153], s[2:3], v[124:125]
	;; [unrolled: 1-line block ×3, first 2 shown]
	v_fma_f64 v[174:175], v[80:81], s[54:55], v[120:121]
	v_fma_f64 v[120:121], v[80:81], s[30:31], v[120:121]
	v_fma_f64 v[176:177], v[80:81], s[52:53], v[126:127]
	v_fma_f64 v[126:127], v[80:81], s[28:29], v[126:127]
	v_fma_f64 v[178:179], v[80:81], s[22:23], v[156:157]
	v_fma_f64 v[156:157], v[80:81], s[50:51], v[156:157]
	v_fma_f64 v[180:181], v[80:81], s[38:39], v[158:159]
	v_fma_f64 v[158:159], v[80:81], s[42:43], v[158:159]
	v_fma_f64 v[186:187], v[80:81], s[46:47], v[160:161]
	v_add_f64_e32 v[98:99], v[98:99], v[162:163]
	v_add_f64_e32 v[88:89], v[24:25], v[90:91]
	v_mul_f64_e32 v[90:91], s[14:15], v[124:125]
	v_mul_f64_e32 v[124:125], s[12:13], v[124:125]
	v_fma_f64 v[172:173], v[80:81], s[34:35], v[100:101]
	v_fma_f64 v[100:101], v[80:81], s[44:45], v[100:101]
	v_add_f64_e32 v[96:97], v[96:97], v[132:133]
	v_add_f64_e32 v[130:131], v[182:183], v[130:131]
	;; [unrolled: 1-line block ×12, first 2 shown]
	v_fma_f64 v[80:81], v[80:81], s[24:25], v[160:161]
	v_add_f64_e32 v[82:83], v[82:83], v[84:85]
	v_add_f64_e32 v[84:85], v[108:109], v[86:87]
	v_mul_f64_e32 v[108:109], s[14:15], v[102:103]
	v_mul_f64_e32 v[144:145], s[16:17], v[102:103]
	;; [unrolled: 1-line block ×5, first 2 shown]
	v_fma_f64 v[162:163], v[10:11], s[28:29], v[110:111]
	v_fma_f64 v[110:111], v[10:11], s[52:53], v[110:111]
	;; [unrolled: 1-line block ×9, first 2 shown]
	v_add_f64_e32 v[32:33], v[98:99], v[32:33]
	v_add_f64_e32 v[86:87], v[20:21], v[88:89]
	v_mul_f64_e32 v[88:89], s[20:21], v[102:103]
	v_mul_f64_e32 v[102:103], s[6:7], v[102:103]
	v_fma_f64 v[160:161], v[10:11], s[40:41], v[90:91]
	v_fma_f64 v[90:91], v[10:11], s[36:37], v[90:91]
	v_add_f64_e32 v[92:93], v[92:93], v[124:125]
	v_add_f64_e32 v[124:125], v[172:173], v[130:131]
	;; [unrolled: 1-line block ×12, first 2 shown]
	v_fma_f64 v[10:11], v[10:11], s[22:23], v[168:169]
	v_add_f64_e32 v[80:81], v[80:81], v[82:83]
	v_add_f64_e32 v[82:83], v[96:97], v[84:85]
	v_fma_f64 v[96:97], v[0:1], s[40:41], v[108:109]
	v_fma_f64 v[98:99], v[0:1], s[36:37], v[108:109]
	;; [unrolled: 1-line block ×9, first 2 shown]
	v_add_f64_e32 v[78:79], v[78:79], v[150:151]
	v_add_f64_e32 v[32:33], v[94:95], v[32:33]
	;; [unrolled: 1-line block ×3, first 2 shown]
	v_fma_f64 v[86:87], v[0:1], s[22:23], v[88:89]
	v_fma_f64 v[88:89], v[0:1], s[50:51], v[88:89]
	v_add_f64_e32 v[76:77], v[76:77], v[102:103]
	v_fma_f64 v[0:1], v[0:1], s[42:43], v[148:149]
	v_add_f64_e32 v[102:103], v[160:161], v[124:125]
	v_add_f64_e32 v[90:91], v[90:91], v[100:101]
	;; [unrolled: 1-line block ×14, first 2 shown]
	v_mad_u32_u24 v78, 0x88, v104, 0
	v_add_f64_e32 v[82:83], v[12:13], v[84:85]
	v_add_f64_e32 v[84:85], v[86:87], v[102:103]
	;; [unrolled: 1-line block ×15, first 2 shown]
	ds_store_2addr_b64 v78, v[98:99], v[96:97] offset0:4 offset1:5
	ds_store_2addr_b64 v78, v[94:95], v[90:91] offset0:6 offset1:7
	;; [unrolled: 1-line block ×7, first 2 shown]
	ds_store_2addr_b64 v78, v[76:77], v[10:11] offset1:1
	ds_store_b64 v78, v[4:5] offset:128
.LBB0_13:
	s_wait_alu 0xfffe
	s_or_b32 exec_lo, exec_lo, s1
	v_add_f64_e64 v[142:143], v[52:53], -v[6:7]
	v_add_f64_e64 v[140:141], v[56:57], -v[12:13]
	v_add_f64_e32 v[134:135], v[8:9], v[54:55]
	v_add_f64_e64 v[128:129], v[60:61], -v[16:17]
	v_add_f64_e32 v[126:127], v[14:15], v[58:59]
	v_add_f64_e32 v[118:119], v[18:19], v[62:63]
	v_add_f64_e64 v[124:125], v[64:65], -v[20:21]
	v_add_f64_e32 v[110:111], v[22:23], v[66:67]
	v_add_f64_e64 v[116:117], v[68:69], -v[24:25]
	v_add_f64_e32 v[64:65], v[26:27], v[70:71]
	v_add_f64_e64 v[108:109], v[72:73], -v[28:29]
	v_add_f64_e32 v[52:53], v[30:31], v[74:75]
	v_add_f64_e64 v[60:61], v[48:49], -v[36:37]
	v_add_f64_e64 v[36:37], v[44:45], -v[40:41]
	v_lshl_add_u32 v105, v104, 3, 0
	global_wb scope:SCOPE_SE
	s_wait_dscnt 0x0
	s_barrier_signal -1
	s_barrier_wait -1
	global_inv scope:SCOPE_SE
	v_add_nc_u32_e32 v144, 0x2c00, v105
	v_add_nc_u32_e32 v145, 0x1c00, v105
	v_mul_f64_e32 v[136:137], s[24:25], v[142:143]
	v_mul_f64_e32 v[138:139], s[28:29], v[142:143]
	;; [unrolled: 1-line block ×14, first 2 shown]
	v_fma_f64 v[0:1], v[134:135], s[2:3], v[136:137]
	v_fma_f64 v[6:7], v[134:135], s[18:19], v[138:139]
	;; [unrolled: 1-line block ×7, first 2 shown]
	v_add_f64_e32 v[0:1], v[34:35], v[0:1]
	v_add_f64_e32 v[6:7], v[34:35], v[6:7]
	s_delay_alu instid0(VALU_DEP_2) | instskip(NEXT) | instid1(VALU_DEP_2)
	v_add_f64_e32 v[0:1], v[10:11], v[0:1]
	v_add_f64_e32 v[6:7], v[12:13], v[6:7]
	v_fma_f64 v[10:11], v[110:111], s[20:21], v[112:113]
	v_fma_f64 v[12:13], v[110:111], s[6:7], v[114:115]
	s_delay_alu instid0(VALU_DEP_4) | instskip(NEXT) | instid1(VALU_DEP_4)
	v_add_f64_e32 v[0:1], v[16:17], v[0:1]
	v_add_f64_e32 v[6:7], v[20:21], v[6:7]
	v_fma_f64 v[20:21], v[64:65], s[14:15], v[68:69]
	v_add_f64_e32 v[16:17], v[38:39], v[50:51]
	s_delay_alu instid0(VALU_DEP_4) | instskip(NEXT) | instid1(VALU_DEP_4)
	v_add_f64_e32 v[0:1], v[10:11], v[0:1]
	v_add_f64_e32 v[6:7], v[12:13], v[6:7]
	v_fma_f64 v[10:11], v[52:53], s[16:17], v[48:49]
	v_fma_f64 v[12:13], v[52:53], s[14:15], v[56:57]
	;; [unrolled: 1-line block ×4, first 2 shown]
	v_add_f64_e32 v[0:1], v[20:21], v[0:1]
	v_add_f64_e32 v[40:41], v[24:25], v[6:7]
	v_add_f64_e32 v[6:7], v[42:43], v[46:47]
	v_mul_f64_e32 v[20:21], s[30:31], v[36:37]
	v_mul_f64_e32 v[24:25], s[46:47], v[36:37]
	v_add_f64_e32 v[0:1], v[10:11], v[0:1]
	v_add_f64_e32 v[10:11], v[12:13], v[40:41]
	s_delay_alu instid0(VALU_DEP_4) | instskip(NEXT) | instid1(VALU_DEP_4)
	v_fma_f64 v[12:13], v[6:7], s[6:7], v[20:21]
	v_fma_f64 v[40:41], v[6:7], s[2:3], v[24:25]
	s_delay_alu instid0(VALU_DEP_4) | instskip(NEXT) | instid1(VALU_DEP_4)
	v_add_f64_e32 v[0:1], v[44:45], v[0:1]
	v_add_f64_e32 v[10:11], v[76:77], v[10:11]
	v_add_nc_u32_e32 v44, 0x2400, v105
	v_add_nc_u32_e32 v45, 0x1400, v105
	s_delay_alu instid0(VALU_DEP_4) | instskip(NEXT) | instid1(VALU_DEP_4)
	v_add_f64_e32 v[12:13], v[12:13], v[0:1]
	v_add_f64_e32 v[10:11], v[40:41], v[10:11]
	v_add_nc_u32_e32 v40, 0xc00, v105
	v_add_nc_u32_e32 v41, 0x400, v105
	ds_load_2addr_b64 v[80:83], v105 offset1:119
	ds_load_2addr_b64 v[76:79], v40 offset0:92 offset1:211
	ds_load_2addr_b64 v[100:103], v44 offset0:38 offset1:157
	;; [unrolled: 1-line block ×6, first 2 shown]
	ds_load_b64 v[0:1], v105 offset:13328
	global_wb scope:SCOPE_SE
	s_wait_dscnt 0x0
	s_barrier_signal -1
	s_barrier_wait -1
	global_inv scope:SCOPE_SE
	s_and_saveexec_b32 s33, s0
	s_cbranch_execz .LBB0_15
; %bb.14:
	v_add_f64_e32 v[54:55], v[54:55], v[34:35]
	v_mul_f64_e32 v[148:149], s[20:21], v[110:111]
	s_mov_b32 s38, 0xeb564b22
	s_mov_b32 s39, 0xbfefdd0d
	;; [unrolled: 1-line block ×9, first 2 shown]
	s_wait_alu 0xfffe
	v_mul_f64_e32 v[158:159], s[38:39], v[142:143]
	s_mov_b32 s43, 0xbfc7851a
	v_mul_f64_e32 v[162:163], s[28:29], v[142:143]
	v_mul_f64_e32 v[164:165], s[34:35], v[142:143]
	;; [unrolled: 1-line block ×3, first 2 shown]
	s_mov_b32 s22, 0xc61f0d01
	s_mov_b32 s56, 0x5d8e7cdc
	;; [unrolled: 1-line block ×15, first 2 shown]
	s_wait_alu 0xfffe
	v_mul_f64_e32 v[166:167], s[42:43], v[140:141]
	v_mul_f64_e32 v[168:169], s[56:57], v[140:141]
	v_mul_f64_e32 v[170:171], s[44:45], v[140:141]
	s_mov_b32 s0, 0x2b2883cd
	s_mov_b32 s1, 0x3fdc86fa
	;; [unrolled: 1-line block ×4, first 2 shown]
	v_add_f64_e32 v[54:55], v[58:59], v[54:55]
	v_mul_f64_e32 v[58:59], s[2:3], v[134:135]
	s_mov_b32 s37, 0x3fedd6d0
	s_mov_b32 s47, 0x3fc7851a
	;; [unrolled: 1-line block ×6, first 2 shown]
	v_mul_f64_e32 v[146:147], s[16:17], v[118:119]
	v_mul_f64_e32 v[182:183], s[34:35], v[128:129]
	s_wait_alu 0xfffe
	v_mul_f64_e32 v[184:185], s[46:47], v[128:129]
	s_mov_b32 s46, 0x75d4884
	s_mov_b32 s47, 0x3fe7a5f6
	v_fma_f64 v[176:177], v[134:135], s[24:25], -v[162:163]
	v_fma_f64 v[178:179], v[134:135], s[26:27], -v[164:165]
	v_fma_f64 v[162:163], v[134:135], s[24:25], v[162:163]
	v_fma_f64 v[164:165], v[134:135], s[26:27], v[164:165]
	s_mov_b32 s53, 0x3fe9895b
	s_mov_b32 s52, s28
	v_mul_f64_e32 v[150:151], s[6:7], v[110:111]
	v_mul_f64_e32 v[196:197], s[44:45], v[124:125]
	;; [unrolled: 1-line block ×4, first 2 shown]
	v_add_f64_e64 v[112:113], v[148:149], -v[112:113]
	v_fma_f64 v[188:189], v[126:127], s[36:37], -v[168:169]
	v_fma_f64 v[168:169], v[126:127], s[36:37], v[168:169]
	v_fma_f64 v[190:191], v[126:127], s[26:27], -v[170:171]
	v_fma_f64 v[170:171], v[126:127], s[26:27], v[170:171]
	v_add_f64_e32 v[54:55], v[62:63], v[54:55]
	v_mul_f64_e32 v[62:63], s[18:19], v[134:135]
	v_add_f64_e64 v[58:59], v[58:59], -v[136:137]
	v_fma_f64 v[136:137], v[134:135], s[0:1], -v[156:157]
	v_fma_f64 v[200:201], v[118:119], s[26:27], -v[182:183]
	v_fma_f64 v[182:183], v[118:119], s[26:27], v[182:183]
	v_fma_f64 v[202:203], v[118:119], s[30:31], -v[184:185]
	v_fma_f64 v[184:185], v[118:119], s[30:31], v[184:185]
	v_add_f64_e32 v[162:163], v[34:35], v[162:163]
	v_add_f64_e32 v[164:165], v[34:35], v[164:165]
	v_add_f64_e64 v[114:115], v[150:151], -v[114:115]
	v_add_f64_e64 v[68:69], v[152:153], -v[68:69]
	;; [unrolled: 1-line block ×3, first 2 shown]
	v_add_f64_e32 v[54:55], v[66:67], v[54:55]
	v_mul_f64_e32 v[66:67], s[18:19], v[126:127]
	s_mov_b32 s18, 0x3259b75e
	s_mov_b32 s19, 0x3fb79ee6
	v_add_f64_e64 v[62:63], v[62:63], -v[138:139]
	s_wait_alu 0xfffe
	v_fma_f64 v[138:139], v[134:135], s[18:19], -v[158:159]
	v_fma_f64 v[158:159], v[134:135], s[18:19], v[158:159]
	v_add_f64_e32 v[58:59], v[34:35], v[58:59]
	v_add_f64_e32 v[136:137], v[34:35], v[136:137]
	;; [unrolled: 1-line block ×3, first 2 shown]
	v_mul_f64_e32 v[70:71], s[20:21], v[126:127]
	s_mov_b32 s20, 0x923c349f
	s_mov_b32 s21, 0xbfeec746
	s_wait_alu 0xfffe
	s_mov_b32 s54, s20
	v_mul_f64_e32 v[160:161], s[20:21], v[142:143]
	v_mul_f64_e32 v[142:143], s[42:43], v[142:143]
	s_wait_alu 0xfffe
	v_mul_f64_e32 v[172:173], s[54:55], v[140:141]
	v_mul_f64_e32 v[186:187], s[54:55], v[128:129]
	v_add_f64_e64 v[66:67], v[66:67], -v[130:131]
	v_add_f64_e32 v[62:63], v[34:35], v[62:63]
	v_add_f64_e32 v[138:139], v[34:35], v[138:139]
	v_mul_f64_e32 v[198:199], s[54:55], v[124:125]
	v_add_f64_e32 v[54:55], v[74:75], v[54:55]
	v_mul_f64_e32 v[74:75], s[10:11], v[118:119]
	v_add_f64_e64 v[70:71], v[70:71], -v[132:133]
	v_fma_f64 v[132:133], v[126:127], s[30:31], -v[166:167]
	v_fma_f64 v[166:167], v[126:127], s[30:31], v[166:167]
	v_fma_f64 v[174:175], v[134:135], s[22:23], -v[160:161]
	v_fma_f64 v[180:181], v[134:135], s[30:31], -v[142:143]
	v_fma_f64 v[142:143], v[134:135], s[30:31], v[142:143]
	v_fma_f64 v[160:161], v[134:135], s[22:23], v[160:161]
	v_fma_f64 v[134:135], v[134:135], s[0:1], v[156:157]
	v_mul_f64_e32 v[156:157], s[38:39], v[128:129]
	v_fma_f64 v[192:193], v[126:127], s[22:23], -v[172:173]
	v_fma_f64 v[172:173], v[126:127], s[22:23], v[172:173]
	v_fma_f64 v[204:205], v[118:119], s[22:23], -v[186:187]
	v_fma_f64 v[186:187], v[118:119], s[22:23], v[186:187]
	v_add_f64_e32 v[58:59], v[66:67], v[58:59]
	v_add_f64_e32 v[50:51], v[50:51], v[54:55]
	v_mul_f64_e32 v[54:55], s[28:29], v[140:141]
	v_mul_f64_e32 v[140:141], s[40:41], v[140:141]
	v_add_f64_e64 v[74:75], v[74:75], -v[120:121]
	v_add_f64_e64 v[120:121], v[146:147], -v[122:123]
	v_add_f64_e32 v[62:63], v[70:71], v[62:63]
	v_add_f64_e32 v[66:67], v[132:133], v[138:139]
	;; [unrolled: 1-line block ×4, first 2 shown]
	v_fma_f64 v[146:147], v[118:119], s[18:19], -v[156:157]
	v_fma_f64 v[156:157], v[118:119], s[18:19], v[156:157]
	v_add_f64_e32 v[138:139], v[172:173], v[162:163]
	v_mul_f64_e32 v[162:163], s[42:43], v[116:117]
	v_fma_f64 v[172:173], v[110:111], s[46:47], -v[196:197]
	v_add_f64_e32 v[46:47], v[46:47], v[50:51]
	v_mul_f64_e32 v[50:51], s[44:45], v[128:129]
	v_mul_f64_e32 v[128:129], s[50:51], v[128:129]
	v_fma_f64 v[130:131], v[126:127], s[24:25], -v[54:55]
	v_fma_f64 v[54:55], v[126:127], s[24:25], v[54:55]
	v_fma_f64 v[194:195], v[126:127], s[0:1], -v[140:141]
	v_fma_f64 v[126:127], v[126:127], s[0:1], v[140:141]
	v_add_f64_e32 v[140:141], v[34:35], v[158:159]
	v_add_f64_e32 v[158:159], v[34:35], v[174:175]
	;; [unrolled: 1-line block ×6, first 2 shown]
	v_mul_f64_e32 v[134:135], s[48:49], v[124:125]
	v_mul_f64_e32 v[180:181], s[34:35], v[124:125]
	v_add_f64_e32 v[142:143], v[168:169], v[142:143]
	v_add_f64_e32 v[160:161], v[170:171], v[160:161]
	;; [unrolled: 1-line block ×6, first 2 shown]
	v_mul_f64_e32 v[46:47], s[56:57], v[124:125]
	v_fma_f64 v[122:123], v[118:119], s[46:47], -v[50:51]
	v_fma_f64 v[50:51], v[118:119], s[46:47], v[50:51]
	v_fma_f64 v[206:207], v[118:119], s[36:37], -v[128:129]
	v_fma_f64 v[118:119], v[118:119], s[36:37], v[128:129]
	v_mul_f64_e32 v[124:125], s[52:53], v[124:125]
	v_add_f64_e32 v[70:71], v[166:167], v[140:141]
	v_add_f64_e32 v[128:129], v[190:191], v[158:159]
	v_add_f64_e32 v[132:133], v[192:193], v[174:175]
	v_add_f64_e32 v[140:141], v[194:195], v[176:177]
	v_add_f64_e32 v[158:159], v[188:189], v[178:179]
	v_add_f64_e32 v[126:127], v[126:127], v[164:165]
	v_add_f64_e32 v[34:35], v[54:55], v[34:35]
	v_mul_f64_e32 v[54:55], s[16:17], v[52:53]
	s_mov_b32 s17, 0x3fefdd0d
	s_mov_b32 s16, s38
	v_fma_f64 v[150:151], v[110:111], s[0:1], -v[134:135]
	v_mul_f64_e32 v[164:165], s[28:29], v[116:117]
	s_wait_alu 0xfffe
	v_mul_f64_e32 v[166:167], s[16:17], v[116:117]
	v_fma_f64 v[168:169], v[110:111], s[26:27], -v[180:181]
	v_fma_f64 v[170:171], v[110:111], s[26:27], v[180:181]
	v_fma_f64 v[134:135], v[110:111], s[0:1], v[134:135]
	v_fma_f64 v[174:175], v[110:111], s[46:47], v[196:197]
	v_fma_f64 v[176:177], v[110:111], s[22:23], -v[198:199]
	v_fma_f64 v[178:179], v[110:111], s[22:23], v[198:199]
	v_add_f64_e32 v[58:59], v[112:113], v[58:59]
	v_add_f64_e32 v[62:63], v[114:115], v[62:63]
	;; [unrolled: 1-line block ×4, first 2 shown]
	v_mul_f64_e32 v[136:137], s[48:49], v[116:117]
	v_fma_f64 v[148:149], v[110:111], s[36:37], -v[46:47]
	v_fma_f64 v[46:47], v[110:111], s[36:37], v[46:47]
	v_mul_f64_e32 v[130:131], s[44:45], v[116:117]
	v_mul_f64_e32 v[116:117], s[50:51], v[116:117]
	v_add_f64_e32 v[70:71], v[186:187], v[70:71]
	v_add_f64_e32 v[74:75], v[122:123], v[128:129]
	v_fma_f64 v[180:181], v[110:111], s[24:25], -v[124:125]
	v_add_f64_e32 v[120:121], v[206:207], v[132:133]
	v_add_f64_e32 v[122:123], v[146:147], v[140:141]
	v_fma_f64 v[110:111], v[110:111], s[24:25], v[124:125]
	v_add_f64_e32 v[118:119], v[118:119], v[138:139]
	v_add_f64_e32 v[124:125], v[200:201], v[158:159]
	;; [unrolled: 1-line block ×6, first 2 shown]
	v_mul_f64_e32 v[132:133], s[34:35], v[108:109]
	v_mul_f64_e32 v[142:143], s[16:17], v[108:109]
	v_fma_f64 v[156:157], v[64:65], s[30:31], -v[162:163]
	v_mul_f64_e32 v[138:139], s[42:43], v[108:109]
	v_fma_f64 v[158:159], v[64:65], s[30:31], v[162:163]
	v_fma_f64 v[160:161], v[64:65], s[24:25], -v[164:165]
	v_fma_f64 v[162:163], v[64:65], s[24:25], v[164:165]
	v_fma_f64 v[164:165], v[64:65], s[18:19], -v[166:167]
	v_mul_f64_e32 v[140:141], s[50:51], v[108:109]
	v_fma_f64 v[166:167], v[64:65], s[18:19], v[166:167]
	v_add_f64_e64 v[48:49], v[54:55], -v[48:49]
	v_add_f64_e32 v[58:59], v[68:69], v[58:59]
	v_add_f64_e32 v[62:63], v[72:73], v[62:63]
	;; [unrolled: 1-line block ×4, first 2 shown]
	v_mul_f64_e32 v[42:43], s[14:15], v[52:53]
	s_mov_b32 s15, 0xbfe58eea
	s_mov_b32 s14, s44
	v_fma_f64 v[154:155], v[64:65], s[0:1], -v[136:137]
	v_fma_f64 v[136:137], v[64:65], s[0:1], v[136:137]
	v_add_f64_e32 v[66:67], v[148:149], v[66:67]
	v_add_f64_e32 v[46:47], v[46:47], v[70:71]
	v_add_f64_e32 v[70:71], v[150:151], v[74:75]
	s_wait_alu 0xfffe
	v_mul_f64_e32 v[146:147], s[14:15], v[108:109]
	v_fma_f64 v[182:183], v[64:65], s[36:37], -v[116:117]
	v_add_f64_e32 v[74:75], v[168:169], v[120:121]
	v_add_f64_e32 v[114:115], v[180:181], v[122:123]
	v_mul_f64_e32 v[108:109], s[40:41], v[108:109]
	v_fma_f64 v[152:153], v[64:65], s[46:47], -v[130:131]
	v_fma_f64 v[130:131], v[64:65], s[46:47], v[130:131]
	v_fma_f64 v[64:65], v[64:65], s[36:37], v[116:117]
	v_add_f64_e32 v[112:113], v[170:171], v[118:119]
	v_add_f64_e32 v[116:117], v[172:173], v[124:125]
	;; [unrolled: 1-line block ×6, first 2 shown]
	v_mul_f64_e32 v[120:121], s[10:11], v[16:17]
	v_mul_f64_e32 v[122:123], s[38:39], v[60:61]
	;; [unrolled: 1-line block ×7, first 2 shown]
	v_fma_f64 v[54:55], v[52:53], s[26:27], -v[132:133]
	v_fma_f64 v[150:151], v[52:53], s[18:19], -v[142:143]
	;; [unrolled: 1-line block ×3, first 2 shown]
	v_fma_f64 v[140:141], v[52:53], s[36:37], v[140:141]
	v_fma_f64 v[142:143], v[52:53], s[18:19], v[142:143]
	v_add_f64_e32 v[48:49], v[48:49], v[58:59]
	v_add_f64_e32 v[26:27], v[26:27], v[30:31]
	;; [unrolled: 1-line block ×3, first 2 shown]
	v_add_f64_e64 v[42:43], v[42:43], -v[56:57]
	v_fma_f64 v[56:57], v[52:53], s[26:27], v[132:133]
	v_mul_f64_e32 v[38:39], s[12:13], v[16:17]
	v_fma_f64 v[132:133], v[52:53], s[30:31], -v[138:139]
	v_fma_f64 v[138:139], v[52:53], s[30:31], v[138:139]
	v_add_f64_e32 v[66:67], v[154:155], v[66:67]
	v_add_f64_e32 v[46:47], v[136:137], v[46:47]
	;; [unrolled: 1-line block ×3, first 2 shown]
	v_fma_f64 v[168:169], v[52:53], s[46:47], -v[146:147]
	v_fma_f64 v[146:147], v[52:53], s[46:47], v[146:147]
	v_add_f64_e32 v[70:71], v[164:165], v[74:75]
	v_add_f64_e32 v[74:75], v[182:183], v[114:115]
	v_fma_f64 v[170:171], v[52:53], s[0:1], -v[108:109]
	v_fma_f64 v[52:53], v[52:53], s[0:1], v[108:109]
	v_mul_f64_e32 v[114:115], s[34:35], v[36:37]
	v_mul_f64_e32 v[136:137], s[40:41], v[36:37]
	v_add_f64_e32 v[72:73], v[166:167], v[112:113]
	v_add_f64_e32 v[108:109], v[160:161], v[116:117]
	v_add_f64_e32 v[112:113], v[162:163], v[118:119]
	v_add_f64_e32 v[64:65], v[64:65], v[110:111]
	v_add_f64_e32 v[50:51], v[158:159], v[50:51]
	v_add_f64_e32 v[34:35], v[130:131], v[34:35]
	v_mul_f64_e32 v[110:111], s[2:3], v[6:7]
	v_mul_f64_e32 v[116:117], s[44:45], v[36:37]
	;; [unrolled: 1-line block ×5, first 2 shown]
	v_add_f64_e64 v[32:33], v[120:121], -v[32:33]
	v_fma_f64 v[156:157], v[16:17], s[24:25], -v[134:135]
	v_fma_f64 v[134:135], v[16:17], s[24:25], v[134:135]
	v_fma_f64 v[158:159], v[16:17], s[36:37], -v[60:61]
	v_fma_f64 v[120:121], v[16:17], s[18:19], v[122:123]
	;; [unrolled: 2-line block ×3, first 2 shown]
	v_add_f64_e32 v[22:23], v[22:23], v[26:27]
	v_add_f64_e32 v[26:27], v[152:153], v[30:31]
	v_mul_f64_e32 v[30:31], s[6:7], v[6:7]
	v_add_f64_e32 v[42:43], v[42:43], v[62:63]
	v_add_f64_e64 v[28:29], v[38:39], -v[28:29]
	v_fma_f64 v[38:39], v[16:17], s[18:19], -v[122:123]
	v_fma_f64 v[122:123], v[16:17], s[30:31], -v[124:125]
	v_add_f64_e32 v[54:55], v[54:55], v[66:67]
	v_add_f64_e32 v[46:47], v[56:57], v[46:47]
	;; [unrolled: 1-line block ×3, first 2 shown]
	v_fma_f64 v[152:153], v[16:17], s[46:47], -v[126:127]
	v_fma_f64 v[124:125], v[16:17], s[30:31], v[124:125]
	v_add_f64_e32 v[58:59], v[168:169], v[70:71]
	v_add_f64_e32 v[62:63], v[132:133], v[74:75]
	v_fma_f64 v[126:127], v[16:17], s[46:47], v[126:127]
	v_fma_f64 v[16:17], v[16:17], s[36:37], v[60:61]
	v_add_f64_e32 v[60:61], v[146:147], v[72:73]
	v_add_f64_e32 v[66:67], v[170:171], v[108:109]
	;; [unrolled: 1-line block ×6, first 2 shown]
	v_add_f64_e64 v[24:25], v[110:111], -v[24:25]
	v_fma_f64 v[68:69], v[6:7], s[46:47], -v[116:117]
	v_fma_f64 v[70:71], v[6:7], s[46:47], v[116:117]
	v_fma_f64 v[72:73], v[6:7], s[24:25], -v[118:119]
	v_fma_f64 v[74:75], v[6:7], s[24:25], v[118:119]
	;; [unrolled: 2-line block ×3, first 2 shown]
	v_fma_f64 v[112:113], v[6:7], s[0:1], -v[136:137]
	v_fma_f64 v[116:117], v[6:7], s[18:19], -v[36:37]
	v_add_f64_e32 v[18:19], v[18:19], v[22:23]
	v_add_f64_e32 v[22:23], v[148:149], v[26:27]
	v_add_f64_e64 v[20:21], v[30:31], -v[20:21]
	v_fma_f64 v[26:27], v[6:7], s[26:27], -v[114:115]
	v_fma_f64 v[30:31], v[6:7], s[26:27], v[114:115]
	v_fma_f64 v[114:115], v[6:7], s[0:1], v[136:137]
	v_fma_f64 v[6:7], v[6:7], s[18:19], v[36:37]
	v_add_f64_e32 v[32:33], v[32:33], v[42:43]
	v_add_f64_e32 v[36:37], v[156:157], v[54:55]
	;; [unrolled: 1-line block ×30, first 2 shown]
	v_lshl_add_u32 v18, v104, 7, v105
	ds_store_2addr_b64 v18, v[24:25], v[32:33] offset0:4 offset1:5
	ds_store_2addr_b64 v18, v[36:37], v[42:43] offset0:6 offset1:7
	;; [unrolled: 1-line block ×6, first 2 shown]
	ds_store_2addr_b64 v18, v[8:9], v[20:21] offset1:1
	ds_store_2addr_b64 v18, v[22:23], v[14:15] offset0:2 offset1:3
	ds_store_b64 v18, v[12:13] offset:128
.LBB0_15:
	s_or_b32 exec_lo, exec_lo, s33
	v_add_nc_u32_e32 v109, 0x77, v104
	v_and_b32_e32 v130, 0xff, v104
	v_add_nc_u32_e32 v108, 0xee, v104
	v_add_nc_u32_e32 v6, 0x165, v104
	;; [unrolled: 1-line block ×3, first 2 shown]
	v_and_b32_e32 v131, 0xff, v109
	v_mul_lo_u16 v8, 0xf1, v130
	v_and_b32_e32 v132, 0xffff, v108
	v_and_b32_e32 v14, 0xffff, v6
	global_wb scope:SCOPE_SE
	s_wait_dscnt 0x0
	v_mul_lo_u16 v9, 0xf1, v131
	v_lshrrev_b16 v133, 12, v8
	v_and_b32_e32 v8, 0xffff, v7
	v_mul_u32_u24_e32 v14, 0xf0f1, v14
	s_barrier_signal -1
	v_lshrrev_b16 v134, 12, v9
	v_mul_u32_u24_e32 v9, 0xf0f1, v132
	v_mul_lo_u16 v15, v133, 17
	v_mul_u32_u24_e32 v8, 0xf0f1, v8
	v_lshrrev_b32_e32 v136, 20, v14
	v_mul_lo_u16 v16, v134, 17
	v_lshrrev_b32_e32 v135, 20, v9
	v_sub_nc_u16 v9, v104, v15
	v_lshrrev_b32_e32 v137, 20, v8
	v_mul_lo_u16 v15, v136, 17
	v_sub_nc_u16 v14, v109, v16
	v_mul_lo_u16 v8, v135, 17
	v_and_b32_e32 v138, 0xff, v9
	v_mul_lo_u16 v9, v137, 17
	v_sub_nc_u16 v6, v6, v15
	v_and_b32_e32 v139, 0xff, v14
	v_sub_nc_u16 v8, v108, v8
	v_lshlrev_b32_e32 v14, 5, v138
	v_sub_nc_u16 v18, v7, v9
	v_and_b32_e32 v141, 0xffff, v6
	v_lshlrev_b32_e32 v22, 5, v139
	v_and_b32_e32 v140, 0xffff, v8
	s_barrier_wait -1
	v_and_b32_e32 v142, 0xffff, v18
	v_lshlrev_b32_e32 v38, 5, v141
	global_inv scope:SCOPE_SE
	v_lshlrev_b32_e32 v30, 5, v140
	s_clause 0x1
	global_load_b128 v[6:9], v14, s[4:5] offset:16
	global_load_b128 v[14:17], v14, s[4:5]
	v_lshlrev_b32_e32 v39, 5, v142
	s_clause 0x7
	global_load_b128 v[18:21], v22, s[4:5] offset:16
	global_load_b128 v[22:25], v22, s[4:5]
	global_load_b128 v[26:29], v30, s[4:5]
	global_load_b128 v[30:33], v30, s[4:5] offset:16
	global_load_b128 v[34:37], v38, s[4:5]
	global_load_b128 v[46:49], v38, s[4:5] offset:16
	;; [unrolled: 2-line block ×3, first 2 shown]
	ds_load_2addr_b64 v[58:61], v40 offset0:92 offset1:211
	ds_load_2addr_b64 v[62:65], v44 offset0:38 offset1:157
	;; [unrolled: 1-line block ×5, first 2 shown]
	ds_load_b64 v[38:39], v105 offset:13328
	s_mov_b32 s0, 0xe8584caa
	s_mov_b32 s1, 0xbfebb67a
	s_mov_b32 s3, 0x3febb67a
	s_wait_alu 0xfffe
	s_mov_b32 s2, s0
	s_mov_b32 s7, 0x3fee6f0e
	;; [unrolled: 1-line block ×5, first 2 shown]
	s_wait_alu 0xfffe
	s_mov_b32 s12, s10
	s_mov_b32 s14, 0x372fe950
	;; [unrolled: 1-line block ×3, first 2 shown]
	s_wait_loadcnt_dscnt 0x904
	v_mul_f64_e32 v[74:75], v[62:63], v[8:9]
	s_wait_loadcnt 0x8
	v_mul_f64_e32 v[42:43], v[60:61], v[16:17]
	s_wait_loadcnt 0x7
	v_mul_f64_e32 v[116:117], v[64:65], v[20:21]
	s_wait_loadcnt_dscnt 0x603
	v_mul_f64_e32 v[114:115], v[66:67], v[24:25]
	s_wait_loadcnt_dscnt 0x101
	;; [unrolled: 2-line block ×3, first 2 shown]
	v_mul_f64_e32 v[128:129], v[38:39], v[56:57]
	v_mul_f64_e32 v[118:119], v[68:69], v[28:29]
	;; [unrolled: 1-line block ×15, first 2 shown]
	v_fma_f64 v[74:75], v[100:101], v[6:7], v[74:75]
	v_fma_f64 v[42:43], v[78:79], v[14:15], v[42:43]
	;; [unrolled: 1-line block ×10, first 2 shown]
	v_fma_f64 v[60:61], v[60:61], v[14:15], -v[16:17]
	v_fma_f64 v[7:8], v[62:63], v[6:7], -v[8:9]
	;; [unrolled: 1-line block ×10, first 2 shown]
	v_mul_lo_u16 v6, 0xa1, v130
	v_mul_lo_u16 v9, 0xa1, v131
	v_mul_u32_u24_e32 v54, 0xa0a1, v132
	v_and_b32_e32 v55, 0xffff, v133
	ds_load_2addr_b64 v[14:17], v105 offset1:119
	v_lshrrev_b16 v6, 13, v6
	v_lshrrev_b16 v162, 13, v9
	v_lshrrev_b32_e32 v163, 21, v54
	v_mul_u32_u24_e32 v9, 0x198, v55
	ds_load_2addr_b64 v[18:21], v41 offset0:110 offset1:229
	v_mul_lo_u16 v56, v6, 51
	v_mul_lo_u16 v117, v162, 51
	;; [unrolled: 1-line block ×3, first 2 shown]
	v_and_b32_e32 v112, 0xffff, v134
	v_mul_u32_u24_e32 v113, 0x198, v135
	v_sub_nc_u16 v116, v104, v56
	v_mul_u32_u24_e32 v114, 0x198, v136
	v_mul_u32_u24_e32 v115, 0x198, v137
	v_add_f64_e32 v[38:39], v[42:43], v[74:75]
	v_add_f64_e32 v[62:63], v[80:81], v[42:43]
	v_add_f64_e64 v[42:43], v[42:43], -v[74:75]
	v_add_f64_e32 v[110:111], v[76:77], v[90:91]
	v_add_f64_e32 v[52:53], v[90:91], v[0:1]
	v_add_f64_e32 v[46:47], v[78:79], v[96:97]
	v_add_f64_e32 v[100:101], v[84:85], v[98:99]
	v_add_f64_e32 v[48:49], v[98:99], v[92:93]
	v_add_f64_e32 v[70:71], v[82:83], v[78:79]
	v_add_f64_e32 v[50:51], v[88:89], v[94:95]
	v_add_f64_e32 v[102:103], v[86:87], v[88:89]
	v_add_f64_e32 v[54:55], v[60:61], v[7:8]
	v_add_f64_e64 v[66:67], v[60:61], -v[7:8]
	v_add_f64_e32 v[56:57], v[22:23], v[24:25]
	s_wait_dscnt 0x1
	v_add_f64_e32 v[60:61], v[14:15], v[60:61]
	v_add_f64_e32 v[64:65], v[26:27], v[28:29]
	v_mul_u32_u24_e32 v112, 0x198, v112
	v_add_f64_e32 v[68:69], v[30:31], v[32:33]
	v_and_b32_e32 v164, 0xff, v116
	v_add_f64_e32 v[72:73], v[34:35], v[36:37]
	v_lshlrev_b32_e32 v116, 3, v138
	global_wb scope:SCOPE_SE
	s_wait_dscnt 0x0
	s_barrier_signal -1
	s_barrier_wait -1
	global_inv scope:SCOPE_SE
	v_add3_u32 v9, 0, v9, v116
	v_and_b32_e32 v6, 0xffff, v6
	s_delay_alu instid0(VALU_DEP_1)
	v_mul_u32_u24_e32 v6, 0x7f8, v6
	v_fma_f64 v[38:39], v[38:39], -0.5, v[80:81]
	v_add_f64_e64 v[80:81], v[22:23], -v[24:25]
	v_add_f64_e32 v[22:23], v[16:17], v[22:23]
	v_add_f64_e32 v[62:63], v[62:63], v[74:75]
	v_fma_f64 v[52:53], v[52:53], -0.5, v[76:77]
	v_sub_nc_u16 v76, v109, v117
	v_sub_nc_u16 v77, v108, v118
	v_fma_f64 v[46:47], v[46:47], -0.5, v[82:83]
	v_fma_f64 v[48:49], v[48:49], -0.5, v[84:85]
	v_add_f64_e64 v[84:85], v[30:31], -v[32:33]
	v_fma_f64 v[50:51], v[50:51], -0.5, v[86:87]
	v_fma_f64 v[14:15], v[54:55], -0.5, v[14:15]
	v_and_b32_e32 v165, 0xff, v76
	v_and_b32_e32 v166, 0xffff, v77
	v_add_f64_e64 v[76:77], v[78:79], -v[96:97]
	v_fma_f64 v[16:17], v[56:57], -0.5, v[16:17]
	v_add_f64_e64 v[82:83], v[26:27], -v[28:29]
	v_add_f64_e32 v[26:27], v[18:19], v[26:27]
	v_add_f64_e64 v[78:79], v[98:99], -v[92:93]
	v_fma_f64 v[18:19], v[64:65], -0.5, v[18:19]
	v_add_f64_e64 v[86:87], v[34:35], -v[36:37]
	v_add_f64_e32 v[30:31], v[20:21], v[30:31]
	v_add_f64_e64 v[54:55], v[88:89], -v[94:95]
	v_fma_f64 v[20:21], v[68:69], -0.5, v[20:21]
	v_add_f64_e32 v[34:35], v[58:59], v[34:35]
	v_add_f64_e64 v[56:57], v[90:91], -v[0:1]
	v_fma_f64 v[58:59], v[72:73], -0.5, v[58:59]
	v_add_f64_e32 v[7:8], v[60:61], v[7:8]
	v_add_f64_e32 v[64:65], v[70:71], v[96:97]
	;; [unrolled: 1-line block ×5, first 2 shown]
	v_lshlrev_b32_e32 v96, 3, v141
	v_lshlrev_b32_e32 v97, 3, v142
	;; [unrolled: 1-line block ×4, first 2 shown]
	v_fma_f64 v[72:73], v[66:67], s[0:1], v[38:39]
	v_fma_f64 v[38:39], v[66:67], s[2:3], v[38:39]
	v_add_f64_e32 v[60:61], v[22:23], v[24:25]
	v_fma_f64 v[66:67], v[80:81], s[0:1], v[46:47]
	v_fma_f64 v[46:47], v[80:81], s[2:3], v[46:47]
	v_fma_f64 v[80:81], v[84:85], s[0:1], v[50:51]
	v_fma_f64 v[50:51], v[84:85], s[2:3], v[50:51]
	v_lshlrev_b32_e32 v84, 3, v139
	v_lshlrev_b32_e32 v85, 3, v140
	v_fma_f64 v[90:91], v[42:43], s[2:3], v[14:15]
	v_fma_f64 v[14:15], v[42:43], s[0:1], v[14:15]
	;; [unrolled: 1-line block ×5, first 2 shown]
	v_add3_u32 v98, 0, v112, v84
	v_add3_u32 v99, 0, v113, v85
	v_add_f64_e32 v[84:85], v[26:27], v[28:29]
	v_fma_f64 v[76:77], v[78:79], s[2:3], v[18:19]
	v_fma_f64 v[48:49], v[82:83], s[2:3], v[48:49]
	;; [unrolled: 1-line block ×5, first 2 shown]
	v_add_f64_e32 v[86:87], v[30:31], v[32:33]
	v_fma_f64 v[92:93], v[54:55], s[2:3], v[20:21]
	v_fma_f64 v[54:55], v[54:55], s[0:1], v[20:21]
	v_add_f64_e32 v[88:89], v[34:35], v[36:37]
	v_fma_f64 v[94:95], v[56:57], s[2:3], v[58:59]
	v_fma_f64 v[56:57], v[56:57], s[0:1], v[58:59]
	v_add3_u32 v58, 0, v114, v96
	v_add3_u32 v59, 0, v115, v97
	ds_store_2addr_b64 v9, v[62:63], v[72:73] offset1:17
	ds_store_b64 v9, v[38:39] offset:272
	ds_store_2addr_b64 v98, v[64:65], v[66:67] offset1:17
	ds_store_b64 v98, v[46:47] offset:272
	;; [unrolled: 2-line block ×5, first 2 shown]
	global_wb scope:SCOPE_SE
	s_wait_dscnt 0x0
	s_barrier_signal -1
	s_barrier_wait -1
	global_inv scope:SCOPE_SE
	ds_load_2addr_b64 v[18:21], v105 offset1:119
	ds_load_2addr_b64 v[22:25], v41 offset0:110 offset1:229
	ds_load_2addr_b64 v[26:29], v45 offset0:74 offset1:193
	ds_load_2addr_b64 v[30:33], v145 offset0:56 offset1:175
	ds_load_2addr_b64 v[34:37], v144 offset0:20 offset1:139
	ds_load_2addr_b64 v[46:49], v40 offset0:92 offset1:211
	ds_load_2addr_b64 v[50:53], v44 offset0:38 offset1:157
	ds_load_b64 v[0:1], v105 offset:13328
	global_wb scope:SCOPE_SE
	s_wait_dscnt 0x0
	s_barrier_signal -1
	s_barrier_wait -1
	global_inv scope:SCOPE_SE
	ds_store_2addr_b64 v9, v[7:8], v[90:91] offset1:17
	ds_store_b64 v9, v[14:15] offset:272
	ds_store_2addr_b64 v98, v[60:61], v[42:43] offset1:17
	ds_store_b64 v98, v[16:17] offset:272
	;; [unrolled: 2-line block ×5, first 2 shown]
	global_wb scope:SCOPE_SE
	s_wait_dscnt 0x0
	s_barrier_signal -1
	s_barrier_wait -1
	global_inv scope:SCOPE_SE
	s_clause 0x3
	global_load_b128 v[54:57], v117, s[4:5] offset:560
	global_load_b128 v[58:61], v117, s[4:5] offset:544
	;; [unrolled: 1-line block ×4, first 2 shown]
	v_lshlrev_b32_e32 v7, 6, v166
	s_clause 0x7
	global_load_b128 v[84:87], v102, s[4:5] offset:544
	global_load_b128 v[94:97], v102, s[4:5] offset:560
	global_load_b128 v[98:101], v102, s[4:5] offset:576
	global_load_b128 v[110:113], v102, s[4:5] offset:592
	global_load_b128 v[114:117], v7, s[4:5] offset:544
	global_load_b128 v[118:121], v7, s[4:5] offset:560
	global_load_b128 v[122:125], v7, s[4:5] offset:576
	global_load_b128 v[126:129], v7, s[4:5] offset:592
	ds_load_2addr_b64 v[14:17], v41 offset0:110 offset1:229
	ds_load_2addr_b64 v[130:133], v45 offset0:74 offset1:193
	;; [unrolled: 1-line block ×6, first 2 shown]
	ds_load_b64 v[38:39], v105 offset:13328
	s_mov_b32 s2, 0x134454ff
	s_mov_b32 s3, 0xbfee6f0e
	s_wait_alu 0xfffe
	s_mov_b32 s6, s2
	v_cmp_gt_u32_e64 s0, 17, v104
	s_wait_loadcnt_dscnt 0x702
	v_mul_f64_e32 v[70:71], v[146:147], v[86:87]
	s_wait_loadcnt 0x6
	v_mul_f64_e32 v[72:73], v[132:133], v[96:97]
	v_mul_f64_e32 v[42:43], v[130:131], v[56:57]
	;; [unrolled: 1-line block ×5, first 2 shown]
	s_wait_loadcnt_dscnt 0x501
	v_mul_f64_e32 v[74:75], v[150:151], v[100:101]
	s_wait_loadcnt 0x4
	v_mul_f64_e32 v[76:77], v[140:141], v[112:113]
	s_wait_loadcnt 0x2
	;; [unrolled: 2-line block ×3, first 2 shown]
	v_mul_f64_e32 v[142:143], v[152:153], v[124:125]
	v_mul_f64_e32 v[90:91], v[148:149], v[116:117]
	s_wait_loadcnt_dscnt 0x0
	v_mul_f64_e32 v[154:155], v[38:39], v[128:129]
	v_mul_f64_e32 v[60:61], v[24:25], v[60:61]
	;; [unrolled: 1-line block ×13, first 2 shown]
	v_fma_f64 v[70:71], v[46:47], v[84:85], v[70:71]
	v_fma_f64 v[66:67], v[28:29], v[94:95], v[72:73]
	;; [unrolled: 1-line block ×12, first 2 shown]
	v_fma_f64 v[62:63], v[16:17], v[58:59], -v[60:61]
	v_and_b32_e32 v7, 0xffff, v162
	v_fma_f64 v[8:9], v[138:139], v[64:65], -v[158:159]
	v_fma_f64 v[64:65], v[146:147], v[84:85], -v[160:161]
	;; [unrolled: 1-line block ×11, first 2 shown]
	v_mul_u32_u24_e32 v7, 0x7f8, v7
	v_add_f64_e32 v[38:39], v[20:21], v[70:71]
	v_add_f64_e64 v[112:113], v[66:67], -v[70:71]
	v_add_f64_e64 v[102:103], v[70:71], -v[66:67]
	v_add_f64_e32 v[32:33], v[18:19], v[78:79]
	v_add_f64_e32 v[16:17], v[78:79], v[92:93]
	;; [unrolled: 1-line block ×5, first 2 shown]
	v_add_f64_e64 v[50:51], v[92:93], -v[86:87]
	v_add_f64_e32 v[28:29], v[68:69], v[76:77]
	v_add_f64_e32 v[42:43], v[22:23], v[74:75]
	;; [unrolled: 1-line block ×3, first 2 shown]
	v_add_f64_e64 v[80:81], v[82:83], -v[78:79]
	v_add_f64_e64 v[100:101], v[86:87], -v[92:93]
	;; [unrolled: 1-line block ×12, first 2 shown]
	v_add_f64_e32 v[38:39], v[38:39], v[66:67]
	v_add_f64_e32 v[32:33], v[32:33], v[82:83]
	v_fma_f64 v[16:17], v[16:17], -0.5, v[18:19]
	v_fma_f64 v[0:1], v[0:1], -0.5, v[18:19]
	;; [unrolled: 1-line block ×3, first 2 shown]
	v_add_f64_e64 v[18:19], v[60:61], -v[56:57]
	v_fma_f64 v[20:21], v[26:27], -0.5, v[20:21]
	v_fma_f64 v[28:29], v[28:29], -0.5, v[22:23]
	v_add_f64_e64 v[26:27], v[96:97], -v[98:99]
	v_fma_f64 v[22:23], v[30:31], -0.5, v[22:23]
	v_add_f64_e64 v[30:31], v[78:79], -v[82:83]
	v_add_f64_e32 v[42:43], v[42:43], v[68:69]
	v_add_f64_e32 v[38:39], v[38:39], v[72:73]
	;; [unrolled: 1-line block ×3, first 2 shown]
	s_wait_alu 0xfffe
	v_fma_f64 v[126:127], v[36:37], s[6:7], v[16:17]
	v_fma_f64 v[124:125], v[34:35], s[2:3], v[0:1]
	;; [unrolled: 1-line block ×12, first 2 shown]
	v_add_f64_e32 v[30:31], v[30:31], v[50:51]
	v_add_f64_e32 v[50:51], v[80:81], v[100:101]
	;; [unrolled: 1-line block ×7, first 2 shown]
	v_fma_f64 v[112:113], v[36:37], s[10:11], v[124:125]
	v_fma_f64 v[0:1], v[36:37], s[12:13], v[0:1]
	;; [unrolled: 1-line block ×12, first 2 shown]
	v_add_f64_e32 v[28:29], v[32:33], v[92:93]
	v_add_f64_e32 v[32:33], v[38:39], v[88:89]
	;; [unrolled: 1-line block ×3, first 2 shown]
	v_fma_f64 v[42:43], v[30:31], s[14:15], v[112:113]
	v_fma_f64 v[30:31], v[30:31], s[14:15], v[0:1]
	;; [unrolled: 1-line block ×12, first 2 shown]
	v_lshlrev_b32_e32 v21, 3, v164
	v_lshlrev_b32_e32 v22, 3, v165
	v_mul_u32_u24_e32 v20, 0x7f8, v163
	v_lshlrev_b32_e32 v23, 3, v166
	s_delay_alu instid0(VALU_DEP_4) | instskip(NEXT) | instid1(VALU_DEP_4)
	v_add3_u32 v102, 0, v6, v21
	v_add3_u32 v101, 0, v7, v22
	s_delay_alu instid0(VALU_DEP_3)
	v_add3_u32 v100, 0, v20, v23
	ds_load_2addr_b64 v[20:23], v105 offset1:119
	global_wb scope:SCOPE_SE
	s_wait_dscnt 0x0
	s_barrier_signal -1
	s_barrier_wait -1
	global_inv scope:SCOPE_SE
	ds_store_2addr_b64 v102, v[28:29], v[42:43] offset1:51
	ds_store_2addr_b64 v102, v[36:37], v[16:17] offset0:102 offset1:153
	ds_store_b64 v102, v[30:31] offset:1632
	ds_store_2addr_b64 v101, v[32:33], v[34:35] offset1:51
	ds_store_2addr_b64 v101, v[24:25], v[48:49] offset0:102 offset1:153
	ds_store_b64 v101, v[18:19] offset:1632
	;; [unrolled: 3-line block ×3, first 2 shown]
	global_wb scope:SCOPE_SE
	s_wait_dscnt 0x0
	s_barrier_signal -1
	s_barrier_wait -1
	global_inv scope:SCOPE_SE
	ds_load_2addr_b64 v[24:27], v105 offset1:119
	ds_load_2addr_b64 v[36:39], v41 offset0:127 offset1:246
	ds_load_2addr_b64 v[40:43], v40 offset0:126 offset1:245
	;; [unrolled: 1-line block ×6, first 2 shown]
                                        ; implicit-def: $vgpr80_vgpr81
                                        ; implicit-def: $vgpr18_vgpr19
	s_and_saveexec_b32 s1, s0
	s_cbranch_execz .LBB0_17
; %bb.16:
	v_add_nc_u32_e32 v0, 0x770, v105
	v_add_nc_u32_e32 v4, 0x1760, v105
	;; [unrolled: 1-line block ×3, first 2 shown]
	ds_load_2addr_b64 v[0:3], v0 offset1:255
	ds_load_2addr_b64 v[4:7], v4 offset1:255
	;; [unrolled: 1-line block ×3, first 2 shown]
	ds_load_b64 v[80:81], v105 offset:14144
.LBB0_17:
	s_wait_alu 0xfffe
	s_or_b32 exec_lo, exec_lo, s1
	v_add_f64_e32 v[110:111], v[58:59], v[54:55]
	v_add_f64_e32 v[112:113], v[62:63], v[8:9]
	;; [unrolled: 1-line block ×7, first 2 shown]
	v_add_f64_e64 v[78:79], v[78:79], -v[92:93]
	v_add_f64_e64 v[82:83], v[82:83], -v[86:87]
	v_add_f64_e32 v[86:87], v[22:23], v[64:65]
	v_add_f64_e32 v[92:93], v[14:15], v[84:85]
	v_add_f64_e64 v[70:71], v[70:71], -v[88:89]
	v_add_f64_e64 v[66:67], v[66:67], -v[72:73]
	;; [unrolled: 1-line block ×9, first 2 shown]
	global_wb scope:SCOPE_SE
	s_wait_dscnt 0x0
	s_barrier_signal -1
	s_barrier_wait -1
	global_inv scope:SCOPE_SE
	v_fma_f64 v[110:111], v[110:111], -0.5, v[20:21]
	v_fma_f64 v[20:21], v[112:113], -0.5, v[20:21]
	;; [unrolled: 1-line block ×6, first 2 shown]
	v_add_f64_e64 v[114:115], v[64:65], -v[60:61]
	v_add_f64_e64 v[64:65], v[60:61], -v[64:65]
	v_add_f64_e32 v[58:59], v[122:123], v[58:59]
	v_add_f64_e32 v[60:61], v[86:87], v[60:61]
	;; [unrolled: 1-line block ×3, first 2 shown]
	v_add_f64_e64 v[112:113], v[54:55], -v[8:9]
	v_add_f64_e64 v[120:121], v[84:85], -v[96:97]
	v_add_f64_e64 v[84:85], v[96:97], -v[84:85]
	v_add_f64_e64 v[116:117], v[52:53], -v[56:57]
	v_add_f64_e64 v[118:119], v[56:57], -v[52:53]
	v_add_f64_e32 v[88:89], v[88:89], v[90:91]
	v_fma_f64 v[92:93], v[78:79], s[6:7], v[110:111]
	v_fma_f64 v[96:97], v[78:79], s[2:3], v[110:111]
	;; [unrolled: 1-line block ×12, first 2 shown]
	v_add_f64_e32 v[54:55], v[58:59], v[54:55]
	v_add_f64_e32 v[56:57], v[60:61], v[56:57]
	;; [unrolled: 1-line block ×8, first 2 shown]
	v_fma_f64 v[60:61], v[82:83], s[12:13], v[92:93]
	v_fma_f64 v[82:83], v[82:83], s[10:11], v[96:97]
	v_fma_f64 v[86:87], v[78:79], s[12:13], v[110:111]
	v_fma_f64 v[20:21], v[78:79], s[10:11], v[20:21]
	v_fma_f64 v[78:79], v[66:67], s[12:13], v[122:123]
	v_fma_f64 v[66:67], v[66:67], s[10:11], v[72:73]
	v_fma_f64 v[72:73], v[70:71], s[12:13], v[128:129]
	v_fma_f64 v[22:23], v[70:71], s[10:11], v[22:23]
	v_fma_f64 v[70:71], v[68:69], s[12:13], v[130:131]
	v_fma_f64 v[92:93], v[74:75], s[12:13], v[132:133]
	v_fma_f64 v[14:15], v[74:75], s[10:11], v[14:15]
	v_fma_f64 v[68:69], v[68:69], s[10:11], v[76:77]
	v_add_f64_e32 v[54:55], v[54:55], v[8:9]
	v_add_f64_e32 v[52:53], v[56:57], v[52:53]
	;; [unrolled: 1-line block ×3, first 2 shown]
	v_add_nc_u32_e32 v76, 0x1400, v105
	v_add_nc_u32_e32 v77, 0x1c00, v105
	v_fma_f64 v[58:59], v[88:89], s[14:15], v[60:61]
	v_fma_f64 v[60:61], v[88:89], s[14:15], v[82:83]
	;; [unrolled: 1-line block ×12, first 2 shown]
	v_add_nc_u32_e32 v68, 0x400, v105
	v_add_nc_u32_e32 v69, 0xc00, v105
	;; [unrolled: 1-line block ×4, first 2 shown]
	ds_store_2addr_b64 v102, v[54:55], v[58:59] offset1:51
	ds_store_2addr_b64 v102, v[74:75], v[20:21] offset0:102 offset1:153
	ds_store_b64 v102, v[60:61] offset:1632
	ds_store_2addr_b64 v101, v[52:53], v[62:63] offset1:51
	ds_store_2addr_b64 v101, v[72:73], v[22:23] offset0:102 offset1:153
	ds_store_b64 v101, v[66:67] offset:1632
	;; [unrolled: 3-line block ×3, first 2 shown]
	global_wb scope:SCOPE_SE
	s_wait_dscnt 0x0
	s_barrier_signal -1
	s_barrier_wait -1
	global_inv scope:SCOPE_SE
	ds_load_2addr_b64 v[52:55], v105 offset1:119
	ds_load_2addr_b64 v[64:67], v68 offset0:127 offset1:246
	ds_load_2addr_b64 v[68:71], v69 offset0:126 offset1:245
	;; [unrolled: 1-line block ×6, first 2 shown]
                                        ; implicit-def: $vgpr82_vgpr83
                                        ; implicit-def: $vgpr22_vgpr23
	s_and_saveexec_b32 s1, s0
	s_cbranch_execz .LBB0_19
; %bb.18:
	v_add_nc_u32_e32 v8, 0x770, v105
	v_add_nc_u32_e32 v12, 0x1760, v105
	;; [unrolled: 1-line block ×3, first 2 shown]
	ds_load_2addr_b64 v[8:11], v8 offset1:255
	ds_load_2addr_b64 v[12:15], v12 offset1:255
	;; [unrolled: 1-line block ×3, first 2 shown]
	ds_load_b64 v[82:83], v105 offset:14144
.LBB0_19:
	s_wait_alu 0xfffe
	s_or_b32 exec_lo, exec_lo, s1
	s_and_saveexec_b32 s1, vcc_lo
	s_cbranch_execz .LBB0_22
; %bb.20:
	v_mul_u32_u24_e32 v84, 6, v109
	v_mul_u32_u24_e32 v85, 6, v104
	s_mov_b32 s2, 0xe976ee23
	s_mov_b32 s12, 0x36b3c0b5
	;; [unrolled: 1-line block ×3, first 2 shown]
	v_lshlrev_b32_e32 v105, 4, v84
	v_lshlrev_b32_e32 v134, 4, v85
	s_mov_b32 s10, 0x429ad128
	s_mov_b32 s3, 0x3fe11646
	;; [unrolled: 1-line block ×3, first 2 shown]
	s_clause 0xb
	global_load_b128 v[84:87], v105, s[4:5] offset:3824
	global_load_b128 v[88:91], v105, s[4:5] offset:3872
	;; [unrolled: 1-line block ×12, first 2 shown]
	v_mov_b32_e32 v105, 0
	s_mov_b32 s15, 0x3fe948f6
	s_mov_b32 s11, 0xbfebfeb5
	;; [unrolled: 1-line block ×10, first 2 shown]
	s_wait_alu 0xfffe
	s_mov_b32 s22, s6
	s_mov_b32 s18, s20
	;; [unrolled: 1-line block ×4, first 2 shown]
	v_mul_hi_u32 v109, 0x80808081, v109
	s_wait_loadcnt 0xb
	v_mul_f64_e32 v[138:139], v[42:43], v[86:87]
	s_wait_loadcnt 0xa
	v_mul_f64_e32 v[140:141], v[50:51], v[90:91]
	;; [unrolled: 2-line block ×8, first 2 shown]
	v_mul_f64_e32 v[40:41], v[40:41], v[100:101]
	v_mul_f64_e32 v[48:49], v[48:49], v[110:111]
	;; [unrolled: 1-line block ×8, first 2 shown]
	s_wait_loadcnt 0x3
	v_mul_f64_e32 v[154:155], v[34:35], v[122:123]
	s_wait_loadcnt 0x2
	v_mul_f64_e32 v[156:157], v[30:31], v[126:127]
	v_mul_f64_e32 v[30:31], v[30:31], v[128:129]
	;; [unrolled: 1-line block ×3, first 2 shown]
	s_wait_loadcnt 0x1
	v_mul_f64_e32 v[158:159], v[32:33], v[130:131]
	s_wait_loadcnt 0x0
	v_mul_f64_e32 v[160:161], v[28:29], v[134:135]
	v_mul_f64_e32 v[28:29], v[28:29], v[136:137]
	;; [unrolled: 1-line block ×3, first 2 shown]
	s_wait_dscnt 0x4
	v_fma_f64 v[84:85], v[70:71], v[84:85], -v[138:139]
	s_wait_dscnt 0x1
	v_fma_f64 v[88:89], v[78:79], v[88:89], -v[140:141]
	v_fma_f64 v[92:93], v[66:67], v[92:93], -v[142:143]
	s_wait_dscnt 0x0
	v_fma_f64 v[96:97], v[74:75], v[96:97], -v[144:145]
	v_fma_f64 v[100:101], v[68:69], v[100:101], -v[146:147]
	;; [unrolled: 1-line block ×5, first 2 shown]
	v_fma_f64 v[40:41], v[68:69], v[102:103], v[40:41]
	v_fma_f64 v[48:49], v[76:77], v[112:113], v[48:49]
	;; [unrolled: 1-line block ×10, first 2 shown]
	v_fma_f64 v[30:31], v[62:63], v[126:127], -v[30:31]
	v_fma_f64 v[34:35], v[58:59], v[122:123], -v[34:35]
	v_fma_f64 v[58:59], v[56:57], v[132:133], v[158:159]
	v_fma_f64 v[62:63], v[60:61], v[136:137], v[160:161]
	v_fma_f64 v[28:29], v[60:61], v[134:135], -v[28:29]
	v_fma_f64 v[32:33], v[56:57], v[130:131], -v[32:33]
	v_add_f64_e32 v[60:61], v[84:85], v[88:89]
	v_add_f64_e32 v[68:69], v[92:93], v[96:97]
	;; [unrolled: 1-line block ×5, first 2 shown]
	v_add_f64_e64 v[40:41], v[40:41], -v[48:49]
	v_add_f64_e32 v[74:75], v[36:37], v[44:45]
	v_add_f64_e64 v[36:37], v[36:37], -v[44:45]
	v_add_f64_e32 v[76:77], v[42:43], v[50:51]
	;; [unrolled: 2-line block ×3, first 2 shown]
	v_add_f64_e64 v[38:39], v[38:39], -v[46:47]
	v_add_f64_e64 v[86:87], v[64:65], -v[66:67]
	v_add_f64_e32 v[50:51], v[34:35], v[30:31]
	v_add_f64_e64 v[30:31], v[34:35], -v[30:31]
	v_add_f64_e64 v[46:47], v[58:59], -v[62:63]
	v_add_f64_e32 v[58:59], v[58:59], v[62:63]
	v_add_f64_e32 v[90:91], v[32:33], v[28:29]
	v_add_f64_e64 v[32:33], v[32:33], -v[28:29]
	v_add_f64_e64 v[28:29], v[100:101], -v[110:111]
	v_add_f64_e32 v[62:63], v[64:65], v[66:67]
	v_add_f64_e64 v[64:65], v[114:115], -v[118:119]
	v_add_f64_e64 v[66:67], v[84:85], -v[88:89]
	;; [unrolled: 1-line block ×3, first 2 shown]
	v_add_f64_e32 v[48:49], v[60:61], v[68:69]
	v_add_f64_e32 v[44:45], v[56:57], v[70:71]
	;; [unrolled: 1-line block ×3, first 2 shown]
	v_add_f64_e64 v[110:111], v[40:41], -v[36:37]
	v_add_f64_e32 v[88:89], v[76:77], v[78:79]
	v_add_f64_e64 v[96:97], v[42:43], -v[38:39]
	v_add_f64_e64 v[92:93], v[86:87], -v[42:43]
	v_add_f64_e32 v[42:43], v[86:87], v[42:43]
	v_add_f64_e64 v[94:95], v[68:69], -v[50:51]
	v_add_f64_e64 v[98:99], v[50:51], -v[60:61]
	v_add_f64_e64 v[100:101], v[46:47], -v[40:41]
	v_add_f64_e64 v[102:103], v[74:75], -v[58:59]
	v_add_f64_e64 v[86:87], v[38:39], -v[86:87]
	v_add_f64_e32 v[40:41], v[46:47], v[40:41]
	v_add_f64_e64 v[112:113], v[32:33], -v[28:29]
	v_add_f64_e64 v[116:117], v[78:79], -v[62:63]
	;; [unrolled: 1-line block ×5, first 2 shown]
	v_add_f64_e32 v[66:67], v[30:31], v[66:67]
	v_add_f64_e64 v[122:123], v[84:85], -v[30:31]
	v_add_f64_e32 v[124:125], v[32:33], v[28:29]
	v_add_f64_e64 v[60:61], v[60:61], -v[68:69]
	v_add_f64_e64 v[46:47], v[36:37], -v[46:47]
	;; [unrolled: 1-line block ×3, first 2 shown]
	v_add_f64_e32 v[48:49], v[50:51], v[48:49]
	v_add_f64_e64 v[50:51], v[70:71], -v[90:91]
	v_add_f64_e32 v[44:45], v[90:91], v[44:45]
	v_add_f64_e64 v[90:91], v[90:91], -v[56:57]
	;; [unrolled: 2-line block ×3, first 2 shown]
	v_add_f64_e64 v[72:73], v[72:73], -v[74:75]
	v_add_f64_e32 v[88:89], v[62:63], v[88:89]
	v_add_f64_e64 v[62:63], v[62:63], -v[76:77]
	v_mul_f64_e32 v[92:93], s[2:3], v[92:93]
	v_mul_f64_e32 v[126:127], s[10:11], v[96:97]
	;; [unrolled: 1-line block ×5, first 2 shown]
	v_add_f64_e64 v[76:77], v[76:77], -v[78:79]
	v_add_f64_e32 v[38:39], v[42:43], v[38:39]
	v_add_f64_e32 v[36:37], v[40:41], v[36:37]
	;; [unrolled: 1-line block ×5, first 2 shown]
	v_mul_f64_e32 v[50:51], s[14:15], v[50:51]
	v_mul_f64_e32 v[54:55], s[14:15], v[102:103]
	;; [unrolled: 1-line block ×3, first 2 shown]
	v_add_f64_e32 v[32:33], v[52:53], v[44:45]
	v_add_f64_e64 v[52:53], v[56:57], -v[70:71]
	v_mul_f64_e32 v[56:57], s[12:13], v[90:91]
	v_mul_f64_e32 v[70:71], s[2:3], v[112:113]
	v_add_f64_e32 v[30:31], v[24:25], v[34:35]
	v_mul_f64_e32 v[112:113], s[10:11], v[114:115]
	v_mul_f64_e32 v[74:75], s[12:13], v[58:59]
	;; [unrolled: 1-line block ×5, first 2 shown]
	v_add_f64_e32 v[26:27], v[26:27], v[88:89]
	v_mul_f64_e32 v[78:79], s[12:13], v[62:63]
	v_fma_f64 v[64:65], v[86:87], s[6:7], v[92:93]
	v_fma_f64 v[66:67], v[98:99], s[12:13], v[94:95]
	s_wait_alu 0xfffe
	v_fma_f64 v[84:85], v[86:87], s[22:23], -v[126:127]
	v_fma_f64 v[86:87], v[60:61], s[20:21], -v[94:95]
	;; [unrolled: 1-line block ×4, first 2 shown]
	v_fma_f64 v[92:93], v[46:47], s[6:7], v[100:101]
	v_fma_f64 v[94:95], v[110:111], s[10:11], -v[100:101]
	v_fma_f64 v[48:49], v[48:49], s[16:17], v[28:29]
	v_fma_f64 v[90:91], v[90:91], s[12:13], v[50:51]
	;; [unrolled: 1-line block ×3, first 2 shown]
	v_fma_f64 v[46:47], v[46:47], s[22:23], -v[102:103]
	v_fma_f64 v[44:45], v[44:45], s[16:17], v[32:33]
	v_fma_f64 v[50:51], v[52:53], s[20:21], -v[50:51]
	v_fma_f64 v[52:53], v[52:53], s[18:19], -v[56:57]
	v_fma_f64 v[56:57], v[128:129], s[6:7], v[70:71]
	v_fma_f64 v[34:35], v[34:35], s[16:17], v[30:31]
	v_fma_f64 v[96:97], v[128:129], s[22:23], -v[112:113]
	v_fma_f64 v[54:55], v[72:73], s[20:21], -v[54:55]
	;; [unrolled: 1-line block ×4, first 2 shown]
	v_fma_f64 v[62:63], v[62:63], s[12:13], v[24:25]
	v_fma_f64 v[74:75], v[122:123], s[6:7], v[116:117]
	v_fma_f64 v[98:99], v[122:123], s[22:23], -v[118:119]
	v_fma_f64 v[100:101], v[120:121], s[10:11], -v[116:117]
	v_fma_f64 v[88:89], v[88:89], s[16:17], v[26:27]
	v_fma_f64 v[24:25], v[76:77], s[20:21], -v[24:25]
	v_fma_f64 v[76:77], v[76:77], s[18:19], -v[78:79]
	v_fma_f64 v[78:79], v[38:39], s[24:25], v[64:65]
	v_fma_f64 v[64:65], v[38:39], s[24:25], v[84:85]
	;; [unrolled: 1-line block ×5, first 2 shown]
	v_add_f64_e32 v[92:93], v[66:67], v[48:49]
	v_add_f64_e32 v[66:67], v[86:87], v[48:49]
	;; [unrolled: 1-line block ×3, first 2 shown]
	v_fma_f64 v[46:47], v[36:37], s[24:25], v[46:47]
	v_add_f64_e32 v[86:87], v[90:91], v[44:45]
	v_add_f64_e32 v[50:51], v[50:51], v[44:45]
	;; [unrolled: 1-line block ×3, first 2 shown]
	v_fma_f64 v[94:95], v[40:41], s[24:25], v[56:57]
	v_add_f64_e32 v[110:111], v[58:59], v[34:35]
	v_fma_f64 v[96:97], v[40:41], s[24:25], v[96:97]
	v_add_f64_e32 v[54:55], v[54:55], v[34:35]
	v_fma_f64 v[102:103], v[40:41], s[24:25], v[70:71]
	v_add_f64_e32 v[34:35], v[72:73], v[34:35]
	v_fma_f64 v[112:113], v[42:43], s[24:25], v[74:75]
	v_fma_f64 v[98:99], v[42:43], s[24:25], v[98:99]
	;; [unrolled: 1-line block ×3, first 2 shown]
	v_add_f64_e32 v[100:101], v[62:63], v[88:89]
	v_add_f64_e32 v[24:25], v[24:25], v[88:89]
	;; [unrolled: 1-line block ×5, first 2 shown]
	v_add_f64_e64 v[52:53], v[66:67], -v[64:65]
	v_add_f64_e64 v[44:45], v[48:49], -v[38:39]
	;; [unrolled: 1-line block ×5, first 2 shown]
	v_add_f64_e32 v[68:69], v[68:69], v[90:91]
	v_add_f64_e32 v[74:75], v[94:95], v[110:111]
	;; [unrolled: 1-line block ×4, first 2 shown]
	v_add_f64_e64 v[58:59], v[54:55], -v[96:97]
	v_add_f64_e64 v[66:67], v[34:35], -v[102:103]
	v_add_f64_e32 v[62:63], v[102:103], v[34:35]
	v_add_f64_e32 v[56:57], v[84:85], v[86:87]
	v_add_f64_e64 v[54:55], v[110:111], -v[94:95]
	v_add_f64_e64 v[86:87], v[92:93], -v[78:79]
	v_add_f64_e32 v[84:85], v[112:113], v[100:101]
	v_add_f64_e32 v[50:51], v[98:99], v[24:25]
	v_add_f64_e32 v[48:49], v[38:39], v[48:49]
	v_add_f64_e64 v[46:47], v[88:89], -v[42:43]
	v_add_f64_e32 v[42:43], v[42:43], v[88:89]
	v_add_f64_e64 v[38:39], v[24:25], -v[98:99]
	v_add_f64_e64 v[34:35], v[100:101], -v[112:113]
	v_lshrrev_b32_e32 v78, 7, v109
	v_lshlrev_b64_e32 v[24:25], 4, v[104:105]
	v_mov_b32_e32 v79, v105
	v_add_co_u32 v88, vcc_lo, s8, v106
	s_delay_alu instid0(VALU_DEP_4) | instskip(SKIP_2) | instid1(VALU_DEP_3)
	v_mul_u32_u24_e32 v78, 0x5fa, v78
	s_wait_alu 0xfffd
	v_add_co_ci_u32_e32 v89, vcc_lo, s9, v107, vcc_lo
	v_add_co_u32 v24, vcc_lo, v88, v24
	s_delay_alu instid0(VALU_DEP_3) | instskip(SKIP_1) | instid1(VALU_DEP_3)
	v_lshlrev_b64_e32 v[78:79], 4, v[78:79]
	s_wait_alu 0xfffd
	v_add_co_ci_u32_e32 v25, vcc_lo, v89, v25, vcc_lo
	s_delay_alu instid0(VALU_DEP_2) | instskip(SKIP_1) | instid1(VALU_DEP_2)
	v_add_co_u32 v78, vcc_lo, v24, v78
	s_wait_alu 0xfffd
	v_add_co_ci_u32_e32 v79, vcc_lo, v25, v79, vcc_lo
	s_clause 0xd
	global_store_b128 v[24:25], v[30:33], off
	global_store_b128 v[24:25], v[74:77], off offset:4080
	global_store_b128 v[24:25], v[70:73], off offset:8160
	;; [unrolled: 1-line block ×13, first 2 shown]
	s_and_b32 exec_lo, exec_lo, s0
	s_cbranch_execz .LBB0_22
; %bb.21:
	v_subrev_nc_u32_e32 v26, 17, v104
	s_delay_alu instid0(VALU_DEP_1) | instskip(NEXT) | instid1(VALU_DEP_1)
	v_cndmask_b32_e64 v26, v26, v108, s0
	v_mul_i32_i24_e32 v104, 6, v26
	s_delay_alu instid0(VALU_DEP_1) | instskip(NEXT) | instid1(VALU_DEP_1)
	v_lshlrev_b64_e32 v[26:27], 4, v[104:105]
	v_add_co_u32 v46, vcc_lo, s4, v26
	s_wait_alu 0xfffd
	s_delay_alu instid0(VALU_DEP_2)
	v_add_co_ci_u32_e32 v47, vcc_lo, s5, v27, vcc_lo
	s_clause 0x5
	global_load_b128 v[26:29], v[46:47], off offset:3808
	global_load_b128 v[30:33], v[46:47], off offset:3824
	;; [unrolled: 1-line block ×6, first 2 shown]
	s_wait_loadcnt 0x5
	v_mul_f64_e32 v[50:51], v[10:11], v[28:29]
	v_mul_f64_e32 v[28:29], v[2:3], v[28:29]
	s_wait_loadcnt 0x4
	v_mul_f64_e32 v[52:53], v[12:13], v[32:33]
	v_mul_f64_e32 v[32:33], v[4:5], v[32:33]
	;; [unrolled: 3-line block ×6, first 2 shown]
	v_fma_f64 v[2:3], v[2:3], v[26:27], v[50:51]
	v_fma_f64 v[10:11], v[10:11], v[26:27], -v[28:29]
	v_fma_f64 v[4:5], v[4:5], v[30:31], v[52:53]
	v_fma_f64 v[12:13], v[12:13], v[30:31], -v[32:33]
	;; [unrolled: 2-line block ×6, first 2 shown]
	v_add_f64_e32 v[30:31], v[2:3], v[26:27]
	v_add_f64_e32 v[32:33], v[10:11], v[28:29]
	;; [unrolled: 1-line block ×4, first 2 shown]
	v_add_f64_e64 v[4:5], v[4:5], -v[18:19]
	v_add_f64_e64 v[12:13], v[12:13], -v[22:23]
	v_add_f64_e32 v[18:19], v[6:7], v[16:17]
	v_add_f64_e32 v[22:23], v[14:15], v[20:21]
	v_add_f64_e64 v[6:7], v[16:17], -v[6:7]
	v_add_f64_e64 v[14:15], v[20:21], -v[14:15]
	;; [unrolled: 1-line block ×4, first 2 shown]
	v_add_f64_e32 v[2:3], v[34:35], v[30:31]
	v_add_f64_e32 v[20:21], v[36:37], v[32:33]
	v_add_f64_e64 v[26:27], v[30:31], -v[18:19]
	v_add_f64_e64 v[28:29], v[32:33], -v[22:23]
	;; [unrolled: 1-line block ×6, first 2 shown]
	v_add_f64_e32 v[4:5], v[6:7], v[4:5]
	v_add_f64_e32 v[12:13], v[14:15], v[12:13]
	v_add_f64_e64 v[6:7], v[16:17], -v[6:7]
	v_add_f64_e64 v[14:15], v[10:11], -v[14:15]
	v_add_f64_e32 v[46:47], v[18:19], v[2:3]
	v_add_f64_e32 v[20:21], v[22:23], v[20:21]
	v_add_f64_e64 v[18:19], v[18:19], -v[34:35]
	v_add_f64_e64 v[22:23], v[22:23], -v[36:37]
	v_mul_f64_e32 v[26:27], s[14:15], v[26:27]
	v_mul_f64_e32 v[28:29], s[14:15], v[28:29]
	;; [unrolled: 1-line block ×6, first 2 shown]
	v_add_f64_e32 v[4:5], v[4:5], v[16:17]
	v_add_f64_e32 v[10:11], v[12:13], v[10:11]
	;; [unrolled: 1-line block ×4, first 2 shown]
	v_add_f64_e64 v[8:9], v[34:35], -v[30:31]
	v_add_f64_e64 v[30:31], v[36:37], -v[32:33]
	v_mul_f64_e32 v[32:33], s[12:13], v[18:19]
	v_mul_f64_e32 v[34:35], s[12:13], v[22:23]
	v_fma_f64 v[12:13], v[18:19], s[12:13], v[26:27]
	v_fma_f64 v[16:17], v[22:23], s[12:13], v[28:29]
	;; [unrolled: 1-line block ×4, first 2 shown]
	v_fma_f64 v[36:37], v[42:43], s[10:11], -v[38:39]
	v_fma_f64 v[38:39], v[44:45], s[10:11], -v[40:41]
	;; [unrolled: 1-line block ×4, first 2 shown]
	v_fma_f64 v[40:41], v[46:47], s[16:17], v[0:1]
	v_fma_f64 v[20:21], v[20:21], s[16:17], v[2:3]
	v_fma_f64 v[26:27], v[8:9], s[20:21], -v[26:27]
	v_fma_f64 v[28:29], v[30:31], s[20:21], -v[28:29]
	;; [unrolled: 1-line block ×4, first 2 shown]
	v_fma_f64 v[32:33], v[4:5], s[24:25], v[18:19]
	v_fma_f64 v[34:35], v[10:11], s[24:25], v[22:23]
	;; [unrolled: 1-line block ×6, first 2 shown]
	v_add_f64_e32 v[42:43], v[12:13], v[40:41]
	v_add_f64_e32 v[44:45], v[16:17], v[20:21]
	;; [unrolled: 1-line block ×7, first 2 shown]
	v_add_f64_e64 v[6:7], v[44:45], -v[32:33]
	v_add_f64_e32 v[8:9], v[38:39], v[26:27]
	v_add_f64_e64 v[10:11], v[28:29], -v[36:37]
	v_add_f64_e64 v[12:13], v[16:17], -v[22:23]
	v_add_f64_e32 v[14:15], v[18:19], v[20:21]
	v_add_f64_e32 v[16:17], v[22:23], v[16:17]
	v_add_f64_e64 v[18:19], v[20:21], -v[18:19]
	v_add_f64_e64 v[20:21], v[26:27], -v[38:39]
	v_add_f64_e32 v[22:23], v[36:37], v[28:29]
	v_add_f64_e64 v[26:27], v[42:43], -v[34:35]
	v_add_f64_e32 v[28:29], v[32:33], v[44:45]
	s_clause 0x6
	global_store_b128 v[24:25], v[0:3], off offset:3808
	global_store_b128 v[24:25], v[4:7], off offset:7888
	;; [unrolled: 1-line block ×7, first 2 shown]
.LBB0_22:
	s_nop 0
	s_sendmsg sendmsg(MSG_DEALLOC_VGPRS)
	s_endpgm
	.section	.rodata,"a",@progbits
	.p2align	6, 0x0
	.amdhsa_kernel fft_rtc_back_len1785_factors_17_3_5_7_wgs_119_tpt_119_halfLds_dp_ip_CI_unitstride_sbrr_dirReg
		.amdhsa_group_segment_fixed_size 0
		.amdhsa_private_segment_fixed_size 0
		.amdhsa_kernarg_size 88
		.amdhsa_user_sgpr_count 2
		.amdhsa_user_sgpr_dispatch_ptr 0
		.amdhsa_user_sgpr_queue_ptr 0
		.amdhsa_user_sgpr_kernarg_segment_ptr 1
		.amdhsa_user_sgpr_dispatch_id 0
		.amdhsa_user_sgpr_private_segment_size 0
		.amdhsa_wavefront_size32 1
		.amdhsa_uses_dynamic_stack 0
		.amdhsa_enable_private_segment 0
		.amdhsa_system_sgpr_workgroup_id_x 1
		.amdhsa_system_sgpr_workgroup_id_y 0
		.amdhsa_system_sgpr_workgroup_id_z 0
		.amdhsa_system_sgpr_workgroup_info 0
		.amdhsa_system_vgpr_workitem_id 0
		.amdhsa_next_free_vgpr 220
		.amdhsa_next_free_sgpr 58
		.amdhsa_reserve_vcc 1
		.amdhsa_float_round_mode_32 0
		.amdhsa_float_round_mode_16_64 0
		.amdhsa_float_denorm_mode_32 3
		.amdhsa_float_denorm_mode_16_64 3
		.amdhsa_fp16_overflow 0
		.amdhsa_workgroup_processor_mode 1
		.amdhsa_memory_ordered 1
		.amdhsa_forward_progress 0
		.amdhsa_round_robin_scheduling 0
		.amdhsa_exception_fp_ieee_invalid_op 0
		.amdhsa_exception_fp_denorm_src 0
		.amdhsa_exception_fp_ieee_div_zero 0
		.amdhsa_exception_fp_ieee_overflow 0
		.amdhsa_exception_fp_ieee_underflow 0
		.amdhsa_exception_fp_ieee_inexact 0
		.amdhsa_exception_int_div_zero 0
	.end_amdhsa_kernel
	.text
.Lfunc_end0:
	.size	fft_rtc_back_len1785_factors_17_3_5_7_wgs_119_tpt_119_halfLds_dp_ip_CI_unitstride_sbrr_dirReg, .Lfunc_end0-fft_rtc_back_len1785_factors_17_3_5_7_wgs_119_tpt_119_halfLds_dp_ip_CI_unitstride_sbrr_dirReg
                                        ; -- End function
	.section	.AMDGPU.csdata,"",@progbits
; Kernel info:
; codeLenInByte = 13896
; NumSgprs: 60
; NumVgprs: 220
; ScratchSize: 0
; MemoryBound: 1
; FloatMode: 240
; IeeeMode: 1
; LDSByteSize: 0 bytes/workgroup (compile time only)
; SGPRBlocks: 7
; VGPRBlocks: 27
; NumSGPRsForWavesPerEU: 60
; NumVGPRsForWavesPerEU: 220
; Occupancy: 6
; WaveLimiterHint : 1
; COMPUTE_PGM_RSRC2:SCRATCH_EN: 0
; COMPUTE_PGM_RSRC2:USER_SGPR: 2
; COMPUTE_PGM_RSRC2:TRAP_HANDLER: 0
; COMPUTE_PGM_RSRC2:TGID_X_EN: 1
; COMPUTE_PGM_RSRC2:TGID_Y_EN: 0
; COMPUTE_PGM_RSRC2:TGID_Z_EN: 0
; COMPUTE_PGM_RSRC2:TIDIG_COMP_CNT: 0
	.text
	.p2alignl 7, 3214868480
	.fill 96, 4, 3214868480
	.type	__hip_cuid_cfa597835f75ec94,@object ; @__hip_cuid_cfa597835f75ec94
	.section	.bss,"aw",@nobits
	.globl	__hip_cuid_cfa597835f75ec94
__hip_cuid_cfa597835f75ec94:
	.byte	0                               ; 0x0
	.size	__hip_cuid_cfa597835f75ec94, 1

	.ident	"AMD clang version 19.0.0git (https://github.com/RadeonOpenCompute/llvm-project roc-6.4.0 25133 c7fe45cf4b819c5991fe208aaa96edf142730f1d)"
	.section	".note.GNU-stack","",@progbits
	.addrsig
	.addrsig_sym __hip_cuid_cfa597835f75ec94
	.amdgpu_metadata
---
amdhsa.kernels:
  - .args:
      - .actual_access:  read_only
        .address_space:  global
        .offset:         0
        .size:           8
        .value_kind:     global_buffer
      - .offset:         8
        .size:           8
        .value_kind:     by_value
      - .actual_access:  read_only
        .address_space:  global
        .offset:         16
        .size:           8
        .value_kind:     global_buffer
      - .actual_access:  read_only
        .address_space:  global
        .offset:         24
        .size:           8
        .value_kind:     global_buffer
      - .offset:         32
        .size:           8
        .value_kind:     by_value
      - .actual_access:  read_only
        .address_space:  global
        .offset:         40
        .size:           8
        .value_kind:     global_buffer
      - .actual_access:  read_only
        .address_space:  global
        .offset:         48
        .size:           8
        .value_kind:     global_buffer
      - .offset:         56
        .size:           4
        .value_kind:     by_value
      - .actual_access:  read_only
        .address_space:  global
        .offset:         64
        .size:           8
        .value_kind:     global_buffer
      - .actual_access:  read_only
        .address_space:  global
        .offset:         72
        .size:           8
        .value_kind:     global_buffer
      - .address_space:  global
        .offset:         80
        .size:           8
        .value_kind:     global_buffer
    .group_segment_fixed_size: 0
    .kernarg_segment_align: 8
    .kernarg_segment_size: 88
    .language:       OpenCL C
    .language_version:
      - 2
      - 0
    .max_flat_workgroup_size: 119
    .name:           fft_rtc_back_len1785_factors_17_3_5_7_wgs_119_tpt_119_halfLds_dp_ip_CI_unitstride_sbrr_dirReg
    .private_segment_fixed_size: 0
    .sgpr_count:     60
    .sgpr_spill_count: 0
    .symbol:         fft_rtc_back_len1785_factors_17_3_5_7_wgs_119_tpt_119_halfLds_dp_ip_CI_unitstride_sbrr_dirReg.kd
    .uniform_work_group_size: 1
    .uses_dynamic_stack: false
    .vgpr_count:     220
    .vgpr_spill_count: 0
    .wavefront_size: 32
    .workgroup_processor_mode: 1
amdhsa.target:   amdgcn-amd-amdhsa--gfx1201
amdhsa.version:
  - 1
  - 2
...

	.end_amdgpu_metadata
